;; amdgpu-corpus repo=ROCm/rocFFT kind=compiled arch=gfx1030 opt=O3
	.text
	.amdgcn_target "amdgcn-amd-amdhsa--gfx1030"
	.amdhsa_code_object_version 6
	.protected	bluestein_single_back_len1400_dim1_sp_op_CI_CI ; -- Begin function bluestein_single_back_len1400_dim1_sp_op_CI_CI
	.globl	bluestein_single_back_len1400_dim1_sp_op_CI_CI
	.p2align	8
	.type	bluestein_single_back_len1400_dim1_sp_op_CI_CI,@function
bluestein_single_back_len1400_dim1_sp_op_CI_CI: ; @bluestein_single_back_len1400_dim1_sp_op_CI_CI
; %bb.0:
	s_load_dwordx4 s[12:15], s[4:5], 0x28
	v_mul_u32_u24_e32 v1, 0x493, v0
	s_mov_b64 s[18:19], s[2:3]
	s_mov_b64 s[16:17], s[0:1]
	v_mov_b32_e32 v177, 0
	s_add_u32 s16, s16, s7
	v_lshrrev_b32_e32 v1, 16, v1
	s_addc_u32 s17, s17, 0
	s_mov_b32 s0, exec_lo
	v_add_nc_u32_e32 v176, s6, v1
	s_waitcnt lgkmcnt(0)
	v_cmpx_gt_u64_e64 s[12:13], v[176:177]
	s_cbranch_execz .LBB0_39
; %bb.1:
	s_clause 0x1
	s_load_dwordx4 s[0:3], s[4:5], 0x18
	s_load_dwordx2 s[12:13], s[4:5], 0x0
	v_mul_lo_u16 v1, v1, 56
	v_sub_nc_u16 v2, v0, v1
	v_and_b32_e32 v215, 0xffff, v2
	v_lshlrev_b32_e32 v213, 3, v215
	v_or_b32_e32 v214, 0x1c0, v215
	s_waitcnt lgkmcnt(0)
	s_load_dwordx4 s[8:11], s[0:1], 0x0
	s_clause 0x4
	global_load_dwordx2 v[201:202], v213, s[12:13]
	global_load_dwordx2 v[199:200], v213, s[12:13] offset:448
	global_load_dwordx2 v[195:196], v213, s[12:13] offset:896
	;; [unrolled: 1-line block ×4, first 2 shown]
	v_add_co_u32 v54, s0, s12, v213
	v_add_co_ci_u32_e64 v55, null, s13, 0, s0
	v_lshlrev_b32_e32 v9, 3, v214
	v_add_co_u32 v152, vcc_lo, 0x1000, v54
	v_add_co_ci_u32_e32 v153, vcc_lo, 0, v55, vcc_lo
	v_add_co_u32 v5, vcc_lo, 0x1800, v54
	global_load_dwordx2 v[160:161], v9, s[12:13]
	v_add_co_ci_u32_e32 v6, vcc_lo, 0, v55, vcc_lo
	v_add_co_u32 v7, vcc_lo, 0x800, v54
	v_add_co_ci_u32_e32 v8, vcc_lo, 0, v55, vcc_lo
	s_waitcnt lgkmcnt(0)
	v_mad_u64_u32 v[0:1], null, s10, v176, 0
	v_mad_u64_u32 v[3:4], null, s8, v215, 0
	s_mul_i32 s1, s9, 0x2bc
	s_mul_hi_u32 s7, s8, 0x2bc
	s_mul_i32 s0, s8, 0x2bc
	s_add_i32 s1, s7, s1
	v_mad_u64_u32 v[9:10], null, s11, v176, v[1:2]
	v_mad_u64_u32 v[10:11], null, s9, v215, v[4:5]
	s_mul_hi_u32 s11, s8, 0xfffffd7c
	s_mul_i32 s10, s9, 0xfffffd7c
	s_sub_i32 s7, s11, s8
	s_mul_i32 s6, s8, 0xfffffd7c
	v_mov_b32_e32 v1, v9
	s_add_i32 s7, s7, s10
	v_mov_b32_e32 v4, v10
	v_mad_u64_u32 v[9:10], null, s8, v214, 0
	v_lshlrev_b64 v[0:1], 3, v[0:1]
	s_clause 0x1
	global_load_dwordx2 v[203:204], v[152:153], off offset:1504
	global_load_dwordx2 v[197:198], v[152:153], off offset:1952
	v_lshlrev_b64 v[3:4], 3, v[3:4]
	global_load_dwordx2 v[191:192], v[5:6], off offset:352
	v_add_nc_u32_e32 v62, 0x1400, v213
	v_add_nc_u32_e32 v63, 0x1c00, v213
	v_add_co_u32 v24, vcc_lo, s14, v0
	v_add_co_ci_u32_e32 v25, vcc_lo, s15, v1, vcc_lo
	s_lshl_b64 s[14:15], s[0:1], 3
	v_add_co_u32 v0, vcc_lo, v24, v3
	v_add_co_ci_u32_e32 v1, vcc_lo, v25, v4, vcc_lo
	s_lshl_b64 s[0:1], s[6:7], 3
	v_add_co_u32 v3, vcc_lo, v0, s14
	v_add_co_ci_u32_e32 v4, vcc_lo, s15, v1, vcc_lo
	global_load_dwordx2 v[26:27], v[0:1], off
	v_add_co_u32 v11, vcc_lo, v3, s0
	global_load_dwordx2 v[30:31], v[3:4], off
	v_add_co_ci_u32_e32 v12, vcc_lo, s1, v4, vcc_lo
	v_add_co_u32 v13, vcc_lo, v11, s14
	v_mad_u64_u32 v[15:16], null, s9, v214, v[10:11]
	v_add_co_ci_u32_e32 v14, vcc_lo, s15, v12, vcc_lo
	v_add_co_u32 v16, vcc_lo, v13, s0
	v_add_co_ci_u32_e32 v17, vcc_lo, s1, v14, vcc_lo
	v_add_co_u32 v18, vcc_lo, v16, s14
	v_mov_b32_e32 v10, v15
	v_add_co_ci_u32_e32 v19, vcc_lo, s15, v17, vcc_lo
	v_add_co_u32 v20, vcc_lo, v18, s0
	v_lshlrev_b64 v[9:10], 3, v[9:10]
	v_add_co_ci_u32_e32 v21, vcc_lo, s1, v19, vcc_lo
	v_add_co_u32 v22, vcc_lo, v20, s14
	v_add_co_ci_u32_e32 v23, vcc_lo, s15, v21, vcc_lo
	v_add_co_u32 v9, vcc_lo, v24, v9
	;; [unrolled: 2-line block ×3, first 2 shown]
	v_add_co_ci_u32_e32 v25, vcc_lo, s1, v23, vcc_lo
	global_load_dwordx2 v[9:10], v[9:10], off
	v_add_co_u32 v0, vcc_lo, v24, s14
	v_add_co_ci_u32_e32 v1, vcc_lo, s15, v25, vcc_lo
	s_clause 0x1
	global_load_dwordx2 v[11:12], v[11:12], off
	global_load_dwordx2 v[13:14], v[13:14], off
	v_add_co_u32 v28, vcc_lo, v0, s0
	v_add_co_ci_u32_e32 v29, vcc_lo, s1, v1, vcc_lo
	global_load_dwordx2 v[15:16], v[16:17], off
	v_add_co_u32 v3, vcc_lo, v28, s14
	v_add_co_ci_u32_e32 v4, vcc_lo, s15, v29, vcc_lo
	;; [unrolled: 3-line block ×3, first 2 shown]
	global_load_dwordx2 v[193:194], v[5:6], off offset:800
	v_add_co_u32 v34, vcc_lo, v32, s14
	v_add_co_ci_u32_e32 v35, vcc_lo, s15, v33, vcc_lo
	global_load_dwordx2 v[19:20], v[20:21], off
	global_load_dwordx2 v[21:22], v[22:23], off
	;; [unrolled: 1-line block ×3, first 2 shown]
	v_add_co_u32 v36, vcc_lo, v34, s0
	v_add_co_ci_u32_e32 v37, vcc_lo, s1, v35, vcc_lo
	s_clause 0x1
	global_load_dwordx2 v[187:188], v[5:6], off offset:1248
	global_load_dwordx2 v[181:182], v[5:6], off offset:1696
	global_load_dwordx2 v[44:45], v[0:1], off
	global_load_dwordx2 v[28:29], v[28:29], off
	v_add_co_u32 v38, vcc_lo, v36, s14
	v_add_co_ci_u32_e32 v39, vcc_lo, s15, v37, vcc_lo
	v_add_co_u32 v42, vcc_lo, 0x2000, v54
	v_add_co_ci_u32_e32 v43, vcc_lo, 0, v55, vcc_lo
	v_mad_u64_u32 v[40:41], null, 0x1c0, s8, v[38:39]
	s_clause 0x3
	global_load_dwordx2 v[185:186], v[7:8], off offset:192
	global_load_dwordx2 v[179:180], v[7:8], off offset:640
	;; [unrolled: 1-line block ×4, first 2 shown]
	global_load_dwordx2 v[46:47], v[3:4], off
	s_clause 0x3
	global_load_dwordx2 v[177:178], v[42:43], off offset:96
	global_load_dwordx2 v[174:175], v[42:43], off offset:544
	global_load_dwordx2 v[170:171], v[42:43], off offset:992
	global_load_dwordx2 v[162:163], v[42:43], off offset:1440
	global_load_dwordx2 v[32:33], v[32:33], off
	global_load_dwordx2 v[34:35], v[34:35], off
	;; [unrolled: 1-line block ×4, first 2 shown]
	global_load_dwordx2 v[164:165], v[152:153], off offset:384
	v_mov_b32_e32 v0, v41
	v_mad_u64_u32 v[0:1], null, 0x1c0, s9, v[0:1]
	v_mov_b32_e32 v41, v0
	v_add_co_u32 v0, vcc_lo, v40, s0
	v_add_co_ci_u32_e32 v1, vcc_lo, s1, v41, vcc_lo
	v_add_co_u32 v3, vcc_lo, v0, s14
	global_load_dwordx2 v[40:41], v[40:41], off
	v_add_co_ci_u32_e32 v4, vcc_lo, s15, v1, vcc_lo
	v_add_co_u32 v5, vcc_lo, v3, s0
	v_add_co_ci_u32_e32 v6, vcc_lo, s1, v4, vcc_lo
	v_add_co_u32 v7, vcc_lo, v5, s14
	v_add_co_ci_u32_e32 v8, vcc_lo, s15, v6, vcc_lo
	global_load_dwordx2 v[156:157], v[42:43], off offset:1888
	global_load_dwordx2 v[42:43], v[0:1], off
	global_load_dwordx2 v[48:49], v[3:4], off
	;; [unrolled: 1-line block ×4, first 2 shown]
	v_add_co_u32 v3, vcc_lo, v7, s0
	v_add_co_ci_u32_e32 v4, vcc_lo, s1, v8, vcc_lo
	v_add_co_u32 v154, vcc_lo, 0x2800, v54
	v_add_co_ci_u32_e32 v155, vcc_lo, 0, v55, vcc_lo
	;; [unrolled: 2-line block ×3, first 2 shown]
	global_load_dwordx2 v[54:55], v[3:4], off
	s_clause 0x1
	global_load_dwordx2 v[166:167], v[152:153], off offset:832
	global_load_dwordx2 v[168:169], v[154:155], off offset:288
	global_load_dwordx2 v[56:57], v[0:1], off
	s_load_dwordx2 s[6:7], s[4:5], 0x38
	s_load_dwordx4 s[8:11], s[2:3], 0x0
	v_add_nc_u32_e32 v6, 0x1800, v213
	v_add_nc_u32_e32 v7, 0x400, v213
	;; [unrolled: 1-line block ×5, first 2 shown]
	v_cmp_gt_u16_e32 vcc_lo, 28, v2
	s_waitcnt vmcnt(38)
	v_mul_f32_e32 v25, v27, v202
	v_mul_f32_e32 v58, v26, v202
	v_fmac_f32_e32 v25, v26, v201
	v_fma_f32 v26, v27, v201, -v58
	s_waitcnt vmcnt(37)
	v_mul_f32_e32 v58, v31, v204
	v_mul_f32_e32 v27, v30, v204
	v_fmac_f32_e32 v58, v30, v203
	v_fma_f32 v59, v31, v203, -v27
	ds_write_b64 v213, v[58:59] offset:5600
	s_waitcnt vmcnt(36)
	v_mul_f32_e32 v8, v10, v161
	v_mul_f32_e32 v64, v9, v161
	s_waitcnt vmcnt(35)
	v_mul_f32_e32 v60, v12, v200
	v_mul_f32_e32 v61, v11, v200
	v_fmac_f32_e32 v8, v9, v160
	v_fma_f32 v9, v10, v160, -v64
	s_waitcnt vmcnt(34)
	v_mul_f32_e32 v10, v13, v198
	v_fmac_f32_e32 v60, v11, v199
	v_fma_f32 v61, v12, v199, -v61
	v_mul_f32_e32 v11, v14, v198
	s_waitcnt vmcnt(33)
	v_mul_f32_e32 v27, v15, v196
	v_fma_f32 v12, v14, v197, -v10
	ds_write2_b64 v213, v[25:26], v[60:61] offset1:56
	v_fmac_f32_e32 v11, v13, v197
	s_waitcnt vmcnt(32)
	v_mul_f32_e32 v13, v18, v192
	v_mul_f32_e32 v26, v17, v192
	;; [unrolled: 1-line block ×3, first 2 shown]
	v_fmac_f32_e32 v13, v17, v191
	v_fma_f32 v14, v18, v191, -v26
	v_fmac_f32_e32 v25, v15, v195
	s_waitcnt vmcnt(30)
	v_mul_f32_e32 v10, v20, v190
	v_mul_f32_e32 v15, v19, v190
	v_fma_f32 v26, v16, v195, -v27
	ds_write2_b64 v62, v[11:12], v[13:14] offset0:116 offset1:172
	s_waitcnt vmcnt(29)
	v_mul_f32_e32 v12, v22, v194
	v_mul_f32_e32 v13, v21, v194
	s_waitcnt vmcnt(25)
	v_mul_f32_e32 v16, v45, v188
	v_mul_f32_e32 v17, v44, v188
	v_fmac_f32_e32 v10, v19, v189
	v_mul_f32_e32 v14, v24, v184
	v_fma_f32 v11, v20, v189, -v15
	v_mul_f32_e32 v15, v23, v184
	v_fmac_f32_e32 v12, v21, v193
	s_waitcnt vmcnt(23)
	v_mul_f32_e32 v18, v29, v186
	v_mul_f32_e32 v19, v28, v186
	v_fma_f32 v13, v22, v193, -v13
	v_fmac_f32_e32 v16, v44, v187
	v_fma_f32 v17, v45, v187, -v17
	v_fmac_f32_e32 v14, v23, v183
	;; [unrolled: 2-line block ×3, first 2 shown]
	v_fma_f32 v19, v29, v185, -v19
	ds_write2_b64 v213, v[25:26], v[10:11] offset0:112 offset1:168
	s_waitcnt vmcnt(19)
	v_mul_f32_e32 v11, v46, v182
	v_mul_f32_e32 v20, v47, v182
	ds_write2_b64 v6, v[12:13], v[16:17] offset0:100 offset1:156
	ds_write2_b64 v7, v[14:15], v[18:19] offset0:96 offset1:152
	s_waitcnt vmcnt(13)
	v_mul_f32_e32 v12, v35, v178
	v_mul_f32_e32 v13, v34, v178
	;; [unrolled: 1-line block ×3, first 2 shown]
	v_fma_f32 v21, v47, v181, -v11
	v_mul_f32_e32 v11, v32, v180
	s_waitcnt vmcnt(12)
	v_mul_f32_e32 v14, v37, v173
	v_mul_f32_e32 v15, v36, v173
	v_fmac_f32_e32 v20, v46, v181
	v_fmac_f32_e32 v12, v34, v177
	v_fma_f32 v13, v35, v177, -v13
	s_waitcnt vmcnt(11)
	v_mul_f32_e32 v16, v39, v175
	v_mul_f32_e32 v17, v38, v175
	v_fmac_f32_e32 v10, v32, v179
	v_fma_f32 v11, v33, v179, -v11
	v_fmac_f32_e32 v14, v36, v172
	v_fma_f32 v15, v37, v172, -v15
	v_fmac_f32_e32 v16, v38, v174
	v_fma_f32 v17, v39, v174, -v17
	s_waitcnt vmcnt(9)
	v_mul_f32_e32 v18, v41, v171
	v_mul_f32_e32 v19, v40, v171
	ds_write2_b64 v63, v[20:21], v[12:13] offset0:84 offset1:140
	v_fmac_f32_e32 v18, v40, v170
	v_fma_f32 v19, v41, v170, -v19
	ds_write2_b64 v3, v[10:11], v[14:15] offset0:80 offset1:136
	ds_write2_b64 v4, v[16:17], v[18:19] offset0:68 offset1:124
	s_waitcnt vmcnt(7)
	v_mul_f32_e32 v12, v42, v159
	v_mul_f32_e32 v22, v43, v159
	s_waitcnt vmcnt(6)
	v_mul_f32_e32 v10, v49, v163
	v_mul_f32_e32 v11, v48, v163
	;; [unrolled: 3-line block ×3, first 2 shown]
	v_fma_f32 v23, v43, v158, -v12
	v_mul_f32_e32 v12, v51, v165
	v_mul_f32_e32 v13, v50, v165
	v_fmac_f32_e32 v22, v42, v158
	v_fmac_f32_e32 v10, v48, v162
	v_fma_f32 v11, v49, v162, -v11
	v_fmac_f32_e32 v14, v52, v156
	s_waitcnt vmcnt(2)
	v_mul_f32_e32 v16, v55, v167
	v_mul_f32_e32 v17, v54, v167
	s_waitcnt vmcnt(0)
	v_mul_f32_e32 v18, v57, v169
	v_mul_f32_e32 v19, v56, v169
	v_fma_f32 v15, v53, v156, -v15
	v_fmac_f32_e32 v12, v50, v164
	v_fma_f32 v13, v51, v164, -v13
	v_fmac_f32_e32 v16, v54, v166
	;; [unrolled: 2-line block ×3, first 2 shown]
	v_fma_f32 v19, v57, v168, -v19
	ds_write2_b64 v3, v[8:9], v[22:23] offset0:192 offset1:248
	ds_write2_b64 v4, v[10:11], v[14:15] offset0:180 offset1:236
	;; [unrolled: 1-line block ×3, first 2 shown]
	ds_write_b64 v213, v[18:19] offset:10528
	s_and_saveexec_b32 s2, vcc_lo
	s_cbranch_execz .LBB0_3
; %bb.2:
	v_add_co_u32 v0, s0, v0, s0
	v_add_co_ci_u32_e64 v1, s0, s1, v1, s0
	v_add_co_u32 v8, s0, v0, s14
	v_add_co_ci_u32_e64 v9, s0, s15, v1, s0
	global_load_dwordx2 v[0:1], v[0:1], off
	s_clause 0x1
	global_load_dwordx2 v[10:11], v[152:153], off offset:1280
	global_load_dwordx2 v[12:13], v[154:155], off offset:736
	global_load_dwordx2 v[8:9], v[8:9], off
	s_waitcnt vmcnt(2)
	v_mul_f32_e32 v14, v1, v11
	v_mul_f32_e32 v2, v0, v11
	s_waitcnt vmcnt(0)
	v_mul_f32_e32 v11, v9, v13
	v_mul_f32_e32 v13, v8, v13
	v_fmac_f32_e32 v14, v0, v10
	v_fma_f32 v15, v1, v10, -v2
	v_fmac_f32_e32 v11, v8, v12
	v_fma_f32 v12, v9, v12, -v13
	ds_write_b64 v213, v[14:15] offset:5376
	ds_write_b64 v213, v[11:12] offset:10976
.LBB0_3:
	s_or_b32 exec_lo, exec_lo, s2
	s_waitcnt lgkmcnt(0)
	s_barrier
	buffer_gl0_inv
	ds_read2_b64 v[35:38], v213 offset1:56
	ds_read2_b64 v[47:50], v5 offset0:188 offset1:244
	ds_read2_b64 v[23:26], v213 offset0:112 offset1:168
	;; [unrolled: 1-line block ×6, first 2 shown]
	v_add_nc_u32_e32 v0, 0x2400, v213
	ds_read2_b64 v[43:46], v4 offset0:12 offset1:68
	ds_read2_b64 v[19:22], v3 offset0:192 offset1:248
	;; [unrolled: 1-line block ×5, first 2 shown]
                                        ; implicit-def: $vgpr51
                                        ; implicit-def: $vgpr0
	s_and_saveexec_b32 s0, vcc_lo
	s_cbranch_execz .LBB0_5
; %bb.4:
	ds_read_b64 v[0:1], v213 offset:5376
	ds_read_b64 v[51:52], v213 offset:10976
.LBB0_5:
	s_or_b32 exec_lo, exec_lo, s0
	s_waitcnt lgkmcnt(10)
	v_sub_f32_e32 v56, v35, v47
	v_sub_f32_e32 v57, v36, v48
	s_waitcnt lgkmcnt(6)
	v_sub_f32_e32 v66, v14, v30
	s_waitcnt lgkmcnt(0)
	v_sub_f32_e32 v16, v4, v16
	v_add_co_u32 v85, s0, v215, 56
	s_load_dwordx2 s[2:3], s[4:5], 0x8
	v_add_co_ci_u32_e64 v2, null, 0, 0, s0
	v_add_co_u32 v84, s0, 0x70, v215
	v_fma_f32 v54, v35, 2.0, -v56
	v_sub_f32_e32 v49, v37, v49
	v_sub_f32_e32 v50, v38, v50
	;; [unrolled: 1-line block ×3, first 2 shown]
	v_fma_f32 v55, v36, 2.0, -v57
	v_sub_f32_e32 v40, v24, v40
	v_sub_f32_e32 v61, v25, v41
	;; [unrolled: 1-line block ×6, first 2 shown]
	v_fma_f32 v64, v14, 2.0, -v66
	v_fma_f32 v14, v4, 2.0, -v16
	v_lshlrev_b32_e32 v4, 4, v215
	v_add_co_u32 v92, null, 0xa8, v215
	v_add_co_u32 v98, null, 0xe0, v215
	v_lshlrev_b32_e32 v53, 1, v215
	v_fma_f32 v47, v37, 2.0, -v49
	v_fma_f32 v48, v38, 2.0, -v50
	;; [unrolled: 1-line block ×5, first 2 shown]
	v_sub_f32_e32 v65, v13, v29
	v_fma_f32 v60, v26, 2.0, -v62
	v_fma_f32 v25, v11, 2.0, -v27
	;; [unrolled: 1-line block ×3, first 2 shown]
	v_sub_f32_e32 v44, v8, v44
	v_sub_f32_e32 v11, v9, v45
	;; [unrolled: 1-line block ×3, first 2 shown]
	v_fma_f32 v41, v7, 2.0, -v43
	v_sub_f32_e32 v15, v3, v15
	v_sub_f32_e32 v7, v5, v17
	s_waitcnt lgkmcnt(0)
	s_barrier
	v_lshlrev_b32_e32 v17, 4, v85
	buffer_gl0_inv
	ds_write_b128 v4, v[54:57]
	v_lshlrev_b32_e32 v4, 4, v84
	v_add_co_ci_u32_e64 v2, null, 0, 0, s0
	v_add_co_u32 v58, null, 0x2a0, v215
	v_fma_f32 v63, v13, 2.0, -v65
	v_fma_f32 v42, v8, 2.0, -v44
	;; [unrolled: 1-line block ×3, first 2 shown]
	v_sub_f32_e32 v31, v19, v31
	v_fma_f32 v10, v10, 2.0, -v12
	v_sub_f32_e32 v32, v20, v32
	v_fma_f32 v13, v3, 2.0, -v15
	v_sub_f32_e32 v8, v6, v18
	v_sub_f32_e32 v2, v0, v51
	;; [unrolled: 1-line block ×3, first 2 shown]
	buffer_store_dword v17, off, s[16:19], 0 offset:4 ; 4-byte Folded Spill
	ds_write_b128 v17, v[47:50]
	v_lshlrev_b32_e32 v17, 4, v92
	buffer_store_dword v4, off, s[16:19], 0 offset:8 ; 4-byte Folded Spill
	ds_write_b128 v4, v[37:40]
	v_lshlrev_b32_e32 v18, 4, v98
	v_lshlrev_b32_e32 v4, 3, v53
	v_sub_f32_e32 v23, v21, v33
	v_sub_f32_e32 v24, v22, v34
	v_fma_f32 v29, v19, 2.0, -v31
	v_fma_f32 v30, v20, 2.0, -v32
	;; [unrolled: 1-line block ×4, first 2 shown]
	v_lshlrev_b32_e32 v55, 1, v85
	v_lshlrev_b32_e32 v52, 1, v84
	;; [unrolled: 1-line block ×3, first 2 shown]
	ds_write_b128 v17, v[59:62]
	v_lshlrev_b32_e32 v57, 1, v98
	ds_write_b128 v18, v[25:28]
	v_add_nc_u32_e32 v246, 0x230, v53
	v_add_nc_u32_e32 v248, 0x2a0, v53
	;; [unrolled: 1-line block ×3, first 2 shown]
	ds_write_b128 v4, v[9:12] offset:6272
	v_lshlrev_b32_e32 v54, 1, v214
	v_lshlrev_b32_e32 v10, 4, v214
	v_add_nc_u32_e32 v253, 0x3f0, v53
	v_add_nc_u32_e32 v254, 0x460, v53
	;; [unrolled: 1-line block ×3, first 2 shown]
	v_lshlrev_b32_e32 v9, 4, v58
	v_fma_f32 v21, v21, 2.0, -v23
	v_fma_f32 v22, v22, 2.0, -v24
	;; [unrolled: 1-line block ×4, first 2 shown]
	buffer_store_dword v17, off, s[16:19], 0 offset:12 ; 4-byte Folded Spill
	buffer_store_dword v18, off, s[16:19], 0 offset:16 ; 4-byte Folded Spill
	ds_write_b128 v4, v[63:66] offset:4480
	ds_write_b128 v4, v[41:44] offset:5376
	buffer_store_dword v9, off, s[16:19], 0 offset:84 ; 4-byte Folded Spill
	ds_write_b128 v10, v[29:32]
	ds_write_b128 v4, v[21:24] offset:8064
	ds_write_b128 v4, v[13:16] offset:8960
	;; [unrolled: 1-line block ×3, first 2 shown]
	s_and_saveexec_b32 s0, vcc_lo
	s_cbranch_execz .LBB0_7
; %bb.6:
	v_lshlrev_b32_e32 v4, 4, v58
	ds_write_b128 v4, v[0:3]
.LBB0_7:
	s_or_b32 exec_lo, exec_lo, s0
	v_add_nc_u32_e32 v20, 0x1000, v213
	v_add_nc_u32_e32 v12, 0x1800, v213
	;; [unrolled: 1-line block ×6, first 2 shown]
	s_waitcnt lgkmcnt(0)
	s_waitcnt_vscnt null, 0x0
	s_barrier
	buffer_gl0_inv
	ds_read2_b64 v[4:7], v213 offset1:56
	ds_read2_b64 v[28:31], v20 offset0:188 offset1:244
	ds_read2_b64 v[8:11], v213 offset0:112 offset1:168
	;; [unrolled: 1-line block ×11, first 2 shown]
	s_and_saveexec_b32 s0, vcc_lo
	s_cbranch_execz .LBB0_9
; %bb.8:
	ds_read_b64 v[0:1], v213 offset:5376
	ds_read_b64 v[2:3], v213 offset:10976
.LBB0_9:
	s_or_b32 exec_lo, exec_lo, s0
	v_and_b32_e32 v217, 1, v215
	v_lshlrev_b32_e32 v58, 1, v58
	v_lshlrev_b32_e32 v59, 3, v217
	buffer_store_dword v58, off, s[16:19], 0 ; 4-byte Folded Spill
	v_and_or_b32 v58, 0x7c, v53, v217
	v_and_or_b32 v60, 0x1fc, v52, v217
	;; [unrolled: 1-line block ×3, first 2 shown]
	global_load_dwordx2 v[205:206], v59, s[2:3]
	v_and_or_b32 v59, 0xfc, v55, v217
	v_and_or_b32 v62, 0x3fc, v57, v217
	;; [unrolled: 1-line block ×9, first 2 shown]
	v_lshlrev_b32_e32 v99, 3, v58
	v_lshlrev_b32_e32 v97, 3, v59
	;; [unrolled: 1-line block ×12, first 2 shown]
	s_waitcnt vmcnt(0) lgkmcnt(0)
	s_waitcnt_vscnt null, 0x0
	s_barrier
	buffer_gl0_inv
	buffer_store_dword v99, off, s[16:19], 0 offset:64 ; 4-byte Folded Spill
	buffer_store_dword v97, off, s[16:19], 0 offset:60 ; 4-byte Folded Spill
	;; [unrolled: 1-line block ×12, first 2 shown]
	v_mul_f32_e32 v58, v29, v206
	v_mul_f32_e32 v59, v28, v206
	;; [unrolled: 1-line block ×26, first 2 shown]
	v_fma_f32 v28, v28, v205, -v58
	v_fmac_f32_e32 v59, v29, v205
	v_fma_f32 v29, v30, v205, -v60
	v_fmac_f32_e32 v61, v31, v205
	;; [unrolled: 2-line block ×13, first 2 shown]
	v_sub_f32_e32 v2, v4, v28
	v_sub_f32_e32 v3, v5, v59
	;; [unrolled: 1-line block ×26, first 2 shown]
	v_fma_f32 v4, v4, 2.0, -v2
	v_fma_f32 v5, v5, 2.0, -v3
	;; [unrolled: 1-line block ×26, first 2 shown]
	ds_write2_b64 v99, v[4:5], v[2:3] offset1:2
	ds_write2_b64 v97, v[6:7], v[28:29] offset1:2
	;; [unrolled: 1-line block ×12, first 2 shown]
	s_and_saveexec_b32 s0, vcc_lo
	s_cbranch_execz .LBB0_11
; %bb.10:
	buffer_load_dword v0, off, s[16:19], 0  ; 4-byte Folded Reload
	s_waitcnt vmcnt(0)
	v_and_or_b32 v0, 0x57c, v0, v217
	v_lshlrev_b32_e32 v0, 3, v0
	ds_write2_b64 v0, v[48:49], v[50:51] offset1:2
.LBB0_11:
	s_or_b32 exec_lo, exec_lo, s0
	v_add_nc_u32_e32 v16, 0x1000, v213
	v_add_nc_u32_e32 v8, 0x1800, v213
	;; [unrolled: 1-line block ×6, first 2 shown]
	s_waitcnt lgkmcnt(0)
	s_waitcnt_vscnt null, 0x0
	s_barrier
	buffer_gl0_inv
	ds_read2_b64 v[0:3], v213 offset1:56
	ds_read2_b64 v[24:27], v16 offset0:188 offset1:244
	ds_read2_b64 v[4:7], v213 offset0:112 offset1:168
	;; [unrolled: 1-line block ×11, first 2 shown]
	s_and_saveexec_b32 s0, vcc_lo
	s_cbranch_execz .LBB0_13
; %bb.12:
	ds_read_b64 v[48:49], v213 offset:5376
	ds_read_b64 v[50:51], v213 offset:10976
.LBB0_13:
	s_or_b32 exec_lo, exec_lo, s0
	v_and_b32_e32 v218, 3, v215
	v_lshlrev_b32_e32 v58, 3, v218
	v_and_or_b32 v53, 0x78, v53, v218
	v_and_or_b32 v52, 0x1f8, v52, v218
	;; [unrolled: 1-line block ×4, first 2 shown]
	global_load_dwordx2 v[207:208], v58, s[2:3] offset:16
	v_and_or_b32 v56, 0x1f8, v56, v218
	v_and_or_b32 v57, 0x3f8, v57, v218
	;; [unrolled: 1-line block ×8, first 2 shown]
	v_lshlrev_b32_e32 v252, 3, v53
	v_lshlrev_b32_e32 v249, 3, v52
	;; [unrolled: 1-line block ×12, first 2 shown]
	s_waitcnt vmcnt(0) lgkmcnt(0)
	s_barrier
	buffer_gl0_inv
	v_mul_f32_e32 v52, v25, v208
	v_mul_f32_e32 v53, v24, v208
	;; [unrolled: 1-line block ×26, first 2 shown]
	v_fma_f32 v24, v24, v207, -v52
	v_fmac_f32_e32 v53, v25, v207
	v_fma_f32 v44, v44, v207, -v64
	v_fmac_f32_e32 v65, v45, v207
	;; [unrolled: 2-line block ×5, first 2 shown]
	v_fma_f32 v46, v36, v207, -v72
	v_fma_f32 v47, v38, v207, -v74
	v_fmac_f32_e32 v75, v39, v207
	v_fma_f32 v26, v26, v207, -v54
	v_fmac_f32_e32 v55, v27, v207
	v_fmac_f32_e32 v73, v37, v207
	v_fma_f32 v28, v28, v207, -v56
	v_fmac_f32_e32 v57, v29, v207
	v_fma_f32 v30, v30, v207, -v58
	;; [unrolled: 2-line block ×5, first 2 shown]
	v_fmac_f32_e32 v77, v51, v207
	v_sub_f32_e32 v24, v0, v24
	v_sub_f32_e32 v25, v1, v53
	;; [unrolled: 1-line block ×26, first 2 shown]
	v_fma_f32 v0, v0, 2.0, -v24
	v_fma_f32 v1, v1, 2.0, -v25
	;; [unrolled: 1-line block ×24, first 2 shown]
	ds_write2_b64 v252, v[0:1], v[24:25] offset1:4
	ds_write2_b64 v251, v[2:3], v[26:27] offset1:4
	;; [unrolled: 1-line block ×7, first 2 shown]
	buffer_store_dword v81, off, s[16:19], 0 offset:80 ; 4-byte Folded Spill
	ds_write2_b64 v81, v[10:11], v[38:39] offset1:4
	buffer_store_dword v80, off, s[16:19], 0 offset:76 ; 4-byte Folded Spill
	ds_write2_b64 v80, v[20:21], v[40:41] offset1:4
	;; [unrolled: 2-line block ×3, first 2 shown]
	ds_write2_b64 v233, v[16:17], v[44:45] offset1:4
	buffer_store_dword v78, off, s[16:19], 0 offset:68 ; 4-byte Folded Spill
	ds_write2_b64 v78, v[18:19], v[46:47] offset1:4
	s_and_saveexec_b32 s0, vcc_lo
	s_cbranch_execz .LBB0_15
; %bb.14:
	buffer_load_dword v0, off, s[16:19], 0  ; 4-byte Folded Reload
	v_fma_f32 v1, v49, 2.0, -v61
	s_waitcnt vmcnt(0)
	v_and_or_b32 v2, 0x578, v0, v218
	v_fma_f32 v0, v48, 2.0, -v60
	v_lshlrev_b32_e32 v2, 3, v2
	ds_write2_b64 v2, v[0:1], v[60:61] offset1:4
.LBB0_15:
	s_or_b32 exec_lo, exec_lo, s0
	v_and_b32_e32 v25, 7, v215
	s_waitcnt lgkmcnt(0)
	s_waitcnt_vscnt null, 0x0
	s_barrier
	buffer_gl0_inv
	v_add_nc_u32_e32 v22, 0x400, v213
	v_lshlrev_b32_e32 v0, 5, v25
	v_add_nc_u32_e32 v12, 0x1000, v213
	v_add_nc_u32_e32 v24, 0x1800, v213
	v_add_nc_u32_e32 v13, 0x2000, v213
	v_add_nc_u32_e32 v23, 0x800, v213
	s_clause 0x1
	global_load_dwordx4 v[4:7], v0, s[2:3] offset:48
	global_load_dwordx4 v[0:3], v0, s[2:3] offset:64
	v_add_nc_u32_e32 v26, 0x2400, v213
	ds_read2_b64 v[14:17], v22 offset0:96 offset1:152
	ds_read2_b64 v[38:41], v12 offset0:48 offset1:104
	v_add_nc_u32_e32 v27, 0x1c00, v213
	ds_read2_b64 v[42:45], v24 offset0:16 offset1:72
	ds_read2_b64 v[46:49], v13 offset0:96 offset1:152
	;; [unrolled: 1-line block ×3, first 2 shown]
	ds_read2_b64 v[18:21], v213 offset1:56
	ds_read2_b64 v[54:57], v24 offset0:128 offset1:184
	ds_read2_b64 v[8:11], v213 offset0:112 offset1:168
	ds_read_b64 v[58:59], v213 offset:10752
	ds_read2_b64 v[62:65], v12 offset0:160 offset1:216
	ds_read2_b64 v[66:69], v26 offset0:80 offset1:136
	;; [unrolled: 1-line block ×4, first 2 shown]
	s_waitcnt vmcnt(0) lgkmcnt(0)
	s_barrier
	buffer_gl0_inv
	v_cmp_gt_u16_e64 s0, 32, v215
	v_mul_f32_e32 v35, v17, v5
	v_mul_f32_e32 v78, v16, v5
	;; [unrolled: 1-line block ×33, first 2 shown]
	v_fma_f32 v16, v16, v4, -v35
	v_fmac_f32_e32 v78, v17, v4
	v_fma_f32 v17, v38, v6, -v36
	v_fma_f32 v80, v44, v0, -v80
	;; [unrolled: 1-line block ×4, first 2 shown]
	v_fmac_f32_e32 v83, v51, v4
	v_fma_f32 v40, v40, v6, -v86
	v_fma_f32 v50, v54, v0, -v88
	;; [unrolled: 1-line block ×4, first 2 shown]
	v_mul_f32_e32 v34, v44, v1
	v_mul_f32_e32 v94, v62, v7
	;; [unrolled: 1-line block ×6, first 2 shown]
	v_fmac_f32_e32 v79, v39, v6
	v_fmac_f32_e32 v30, v47, v2
	v_fmac_f32_e32 v87, v41, v6
	v_fmac_f32_e32 v37, v55, v0
	v_fmac_f32_e32 v31, v49, v2
	v_fma_f32 v39, v52, v4, -v90
	v_fmac_f32_e32 v91, v53, v4
	v_fma_f32 v44, v62, v6, -v93
	v_fma_f32 v54, v56, v0, -v95
	v_fmac_f32_e32 v96, v57, v0
	v_fma_f32 v57, v66, v2, -v97
	v_fmac_f32_e32 v32, v67, v2
	v_fmac_f32_e32 v100, v71, v4
	;; [unrolled: 1-line block ×3, first 2 shown]
	v_fma_f32 v56, v74, v0, -v103
	v_fmac_f32_e32 v104, v75, v0
	v_fma_f32 v74, v68, v2, -v105
	v_fmac_f32_e32 v33, v69, v2
	v_fmac_f32_e32 v26, v73, v4
	v_fma_f32 v35, v42, v6, -v107
	v_fmac_f32_e32 v27, v43, v6
	v_fma_f32 v72, v58, v2, -v109
	v_add_f32_e32 v42, v18, v16
	v_add_f32_e32 v43, v17, v80
	v_sub_f32_e32 v47, v16, v17
	v_sub_f32_e32 v48, v81, v80
	v_add_f32_e32 v53, v19, v78
	v_sub_f32_e32 v67, v38, v40
	v_sub_f32_e32 v68, v82, v50
	v_add_f32_e32 v86, v21, v83
	v_add_f32_e32 v138, v14, v46
	v_fmac_f32_e32 v34, v45, v0
	v_add_f32_e32 v49, v16, v81
	v_mul_f32_e32 v101, v65, v7
	v_fmac_f32_e32 v94, v63, v6
	v_fma_f32 v41, v70, v4, -v99
	v_fma_f32 v36, v76, v0, -v108
	v_fmac_f32_e32 v28, v77, v0
	v_fmac_f32_e32 v29, v59, v2
	v_sub_f32_e32 v59, v78, v30
	v_sub_f32_e32 v51, v17, v16
	;; [unrolled: 1-line block ×5, first 2 shown]
	v_add_f32_e32 v62, v78, v30
	v_sub_f32_e32 v63, v79, v78
	v_add_f32_e32 v65, v20, v38
	v_add_f32_e32 v66, v40, v50
	v_sub_f32_e32 v73, v83, v31
	v_add_f32_e32 v76, v38, v82
	v_sub_f32_e32 v77, v40, v38
	v_sub_f32_e32 v78, v50, v82
	;; [unrolled: 1-line block ×5, first 2 shown]
	v_add_f32_e32 v97, v83, v31
	v_sub_f32_e32 v83, v87, v83
	v_sub_f32_e32 v99, v37, v31
	;; [unrolled: 1-line block ×5, first 2 shown]
	v_add_f32_e32 v130, v11, v100
	v_sub_f32_e32 v134, v100, v102
	v_add_f32_e32 v136, v100, v33
	v_sub_f32_e32 v100, v102, v100
	v_sub_f32_e32 v137, v104, v33
	;; [unrolled: 1-line block ×3, first 2 shown]
	v_add_f32_e32 v144, v46, v72
	v_sub_f32_e32 v145, v35, v46
	v_add_f32_e32 v147, v15, v26
	v_sub_f32_e32 v149, v46, v72
	v_add_f32_e32 v46, v42, v17
	v_fma_f32 v38, -0.5, v43, v18
	v_add_f32_e32 v150, v47, v48
	v_add_f32_e32 v47, v53, v79
	;; [unrolled: 1-line block ×5, first 2 shown]
	v_sub_f32_e32 v69, v79, v34
	v_fma_f32 v18, -0.5, v49, v18
	v_fma_f32 v45, v64, v6, -v101
	v_add_f32_e32 v55, v79, v34
	v_sub_f32_e32 v71, v17, v80
	v_sub_f32_e32 v58, v30, v34
	;; [unrolled: 1-line block ×4, first 2 shown]
	v_add_f32_e32 v88, v87, v37
	v_sub_f32_e32 v90, v40, v50
	v_add_f32_e32 v151, v51, v52
	v_add_f32_e32 v51, v65, v40
	v_fma_f32 v40, -0.5, v66, v20
	v_fma_f32 v20, -0.5, v76, v20
	v_add_f32_e32 v76, v77, v78
	v_add_f32_e32 v77, v93, v95
	;; [unrolled: 1-line block ×7, first 2 shown]
	v_fmamk_f32 v46, v59, 0x3f737871, v38
	v_fmac_f32_e32 v38, 0xbf737871, v59
	v_add_f32_e32 v34, v47, v34
	v_add_f32_e32 v37, v53, v37
	;; [unrolled: 1-line block ×3, first 2 shown]
	v_fmamk_f32 v48, v69, 0xbf737871, v18
	v_fmac_f32_e32 v18, 0x3f737871, v69
	v_add_f32_e32 v139, v35, v36
	v_sub_f32_e32 v143, v72, v36
	v_sub_f32_e32 v146, v36, v72
	v_fmac_f32_e32 v46, 0x3f167918, v69
	v_fmac_f32_e32 v38, 0xbf167918, v69
	v_add_f32_e32 v69, v34, v30
	v_add_f32_e32 v31, v37, v31
	;; [unrolled: 1-line block ×3, first 2 shown]
	v_sub_f32_e32 v36, v35, v36
	v_sub_f32_e32 v35, v26, v27
	;; [unrolled: 1-line block ×3, first 2 shown]
	v_add_f32_e32 v72, v100, v28
	v_add_f32_e32 v148, v27, v28
	v_fmac_f32_e32 v48, 0x3f167918, v59
	v_fmac_f32_e32 v18, 0xbf167918, v59
	v_add_f32_e32 v59, v26, v29
	v_add_f32_e32 v101, v8, v39
	;; [unrolled: 1-line block ×3, first 2 shown]
	v_sub_f32_e32 v110, v44, v39
	v_sub_f32_e32 v115, v39, v57
	v_fma_f32 v39, -0.5, v55, v19
	v_fma_f32 v19, -0.5, v62, v19
	v_add_f32_e32 v37, v35, v37
	v_add_f32_e32 v35, v72, v29
	v_lshrrev_b32_e32 v72, 3, v215
	v_fma_f32 v17, -0.5, v148, v15
	v_fmac_f32_e32 v15, -0.5, v59
	v_sub_f32_e32 v140, v26, v29
	v_sub_f32_e32 v141, v27, v28
	v_fmamk_f32 v49, v71, 0x3f737871, v19
	v_fmac_f32_e32 v19, 0xbf737871, v71
	v_sub_f32_e32 v26, v27, v26
	v_sub_f32_e32 v27, v28, v29
	v_mul_u32_u24_e32 v28, 40, v72
	v_fmamk_f32 v59, v36, 0x3f737871, v15
	v_fmac_f32_e32 v15, 0xbf737871, v36
	v_add_f32_e32 v209, v63, v64
	v_fmac_f32_e32 v49, 0xbf167918, v70
	v_fmac_f32_e32 v19, 0x3f167918, v70
	v_add_f32_e32 v26, v26, v27
	v_or_b32_e32 v27, v28, v25
	v_add_f32_e32 v103, v44, v54
	v_add_f32_e32 v113, v94, v96
	v_fmac_f32_e32 v59, 0xbf167918, v149
	v_fmac_f32_e32 v15, 0x3f167918, v149
	v_lshrrev_b32_e32 v28, 3, v85
	v_add_f32_e32 v119, v91, v32
	v_add_f32_e32 v121, v10, v41
	;; [unrolled: 1-line block ×6, first 2 shown]
	v_fmac_f32_e32 v48, 0x3e9e377a, v151
	v_fmac_f32_e32 v18, 0x3e9e377a, v151
	;; [unrolled: 1-line block ×4, first 2 shown]
	v_lshlrev_b32_e32 v223, 3, v27
	v_sub_f32_e32 v105, v91, v32
	v_add_f32_e32 v112, v9, v91
	v_sub_f32_e32 v125, v41, v45
	v_sub_f32_e32 v128, v45, v41
	;; [unrolled: 1-line block ×3, first 2 shown]
	v_fma_f32 v41, -0.5, v88, v21
	v_fmac_f32_e32 v21, -0.5, v97
	v_fma_f32 v42, -0.5, v103, v8
	v_fma_f32 v43, -0.5, v113, v9
	v_fmac_f32_e32 v59, 0x3e9e377a, v26
	v_fmac_f32_e32 v15, 0x3e9e377a, v26
	v_mul_u32_u24_e32 v26, 40, v28
	v_lshrrev_b32_e32 v27, 3, v84
	v_sub_f32_e32 v106, v94, v96
	v_sub_f32_e32 v116, v44, v54
	;; [unrolled: 1-line block ×3, first 2 shown]
	v_fma_f32 v8, -0.5, v109, v8
	v_fma_f32 v9, -0.5, v119, v9
	v_add_f32_e32 v64, v121, v45
	v_fma_f32 v44, -0.5, v122, v10
	v_add_f32_e32 v65, v130, v102
	v_fma_f32 v45, -0.5, v131, v11
	v_lshrrev_b32_e32 v28, 3, v92
	v_sub_f32_e32 v124, v102, v104
	v_fma_f32 v10, -0.5, v127, v10
	v_fmac_f32_e32 v11, -0.5, v136
	v_add_f32_e32 v79, v16, v58
	v_fma_f32 v16, -0.5, v139, v14
	v_add_f32_e32 v102, v55, v54
	ds_write2_b64 v223, v[48:49], v[18:19] offset0:16 offset1:24
	v_lshrrev_b32_e32 v18, 3, v98
	v_sub_f32_e32 v111, v54, v57
	v_sub_f32_e32 v117, v91, v94
	;; [unrolled: 1-line block ×3, first 2 shown]
	v_add_f32_e32 v58, v112, v94
	v_fma_f32 v14, -0.5, v144, v14
	v_fmamk_f32 v47, v70, 0xbf737871, v39
	v_fmac_f32_e32 v39, 0x3f737871, v70
	v_add_f32_e32 v101, v51, v50
	v_fmamk_f32 v50, v73, 0x3f737871, v40
	v_fmac_f32_e32 v40, 0xbf737871, v73
	v_fmamk_f32 v52, v75, 0xbf737871, v20
	v_fmac_f32_e32 v20, 0x3f737871, v75
	;; [unrolled: 2-line block ×6, first 2 shown]
	v_or_b32_e32 v26, v26, v25
	v_mul_u32_u24_e32 v27, 40, v27
	v_sub_f32_e32 v91, v94, v91
	v_sub_f32_e32 v120, v96, v32
	;; [unrolled: 1-line block ×4, first 2 shown]
	v_fmamk_f32 v62, v106, 0xbf737871, v8
	v_fmac_f32_e32 v8, 0x3f737871, v106
	v_fmamk_f32 v63, v116, 0x3f737871, v9
	v_fmac_f32_e32 v9, 0xbf737871, v116
	v_add_f32_e32 v103, v64, v56
	v_fmamk_f32 v64, v123, 0x3f737871, v44
	v_add_f32_e32 v104, v65, v104
	v_fmamk_f32 v65, v132, 0xbf737871, v45
	v_mul_u32_u24_e32 v19, 40, v28
	v_sub_f32_e32 v129, v56, v74
	v_fmamk_f32 v66, v124, 0xbf737871, v10
	v_fmac_f32_e32 v10, 0x3f737871, v124
	v_fmamk_f32 v67, v133, 0x3f737871, v11
	v_fmac_f32_e32 v11, 0xbf737871, v133
	v_fmac_f32_e32 v44, 0xbf737871, v123
	;; [unrolled: 1-line block ×3, first 2 shown]
	v_fmamk_f32 v56, v140, 0x3f737871, v16
	v_add_f32_e32 v70, v102, v57
	v_fmamk_f32 v57, v149, 0xbf737871, v17
	v_mul_u32_u24_e32 v18, 40, v18
	v_add_f32_e32 v87, v117, v118
	v_add_f32_e32 v96, v58, v96
	v_fmac_f32_e32 v16, 0xbf737871, v140
	v_fmamk_f32 v58, v141, 0xbf737871, v14
	v_fmac_f32_e32 v14, 0x3f737871, v141
	v_fmac_f32_e32 v47, 0xbf167918, v71
	;; [unrolled: 1-line block ×16, first 2 shown]
	v_lshlrev_b32_e32 v221, 3, v26
	v_or_b32_e32 v26, v27, v25
	v_add_f32_e32 v86, v110, v111
	v_add_f32_e32 v88, v91, v120
	;; [unrolled: 1-line block ×4, first 2 shown]
	v_fmac_f32_e32 v62, 0x3f167918, v105
	v_fmac_f32_e32 v8, 0xbf167918, v105
	;; [unrolled: 1-line block ×6, first 2 shown]
	v_or_b32_e32 v19, v19, v25
	v_add_f32_e32 v93, v128, v129
	v_fmac_f32_e32 v66, 0x3f167918, v123
	v_fmac_f32_e32 v10, 0xbf167918, v123
	;; [unrolled: 1-line block ×6, first 2 shown]
	v_add_f32_e32 v97, v142, v143
	v_fmac_f32_e32 v56, 0x3f167918, v141
	v_fmac_f32_e32 v57, 0xbf167918, v36
	v_or_b32_e32 v18, v18, v25
	v_add_f32_e32 v99, v145, v146
	v_add_f32_e32 v68, v80, v81
	;; [unrolled: 1-line block ×4, first 2 shown]
	v_fmac_f32_e32 v16, 0xbf167918, v141
	v_fmac_f32_e32 v58, 0x3f167918, v140
	;; [unrolled: 1-line block ×20, first 2 shown]
	v_lshlrev_b32_e32 v220, 3, v26
	v_add_f32_e32 v32, v103, v74
	v_add_f32_e32 v33, v104, v33
	v_fmac_f32_e32 v62, 0x3e9e377a, v86
	v_fmac_f32_e32 v8, 0x3e9e377a, v86
	;; [unrolled: 1-line block ×6, first 2 shown]
	v_lshlrev_b32_e32 v219, 3, v19
	v_fmac_f32_e32 v66, 0x3e9e377a, v93
	v_fmac_f32_e32 v10, 0x3e9e377a, v93
	;; [unrolled: 1-line block ×8, first 2 shown]
	v_lshlrev_b32_e32 v216, 3, v18
	v_fmac_f32_e32 v16, 0x3e9e377a, v97
	v_fmac_f32_e32 v58, 0x3e9e377a, v99
	;; [unrolled: 1-line block ×4, first 2 shown]
	ds_write2_b64 v223, v[68:69], v[46:47] offset1:8
	ds_write_b64 v223, v[38:39] offset:256
	ds_write2_b64 v221, v[30:31], v[50:51] offset1:8
	ds_write2_b64 v221, v[52:53], v[20:21] offset0:16 offset1:24
	ds_write_b64 v221, v[40:41] offset:256
	ds_write2_b64 v220, v[70:71], v[54:55] offset1:8
	ds_write2_b64 v220, v[62:63], v[8:9] offset0:16 offset1:24
	;; [unrolled: 3-line block ×4, first 2 shown]
	ds_write_b64 v216, v[16:17] offset:256
	s_waitcnt lgkmcnt(0)
	s_barrier
	buffer_gl0_inv
	ds_read2_b64 v[68:71], v213 offset1:56
	ds_read2_b64 v[64:67], v213 offset0:112 offset1:200
	ds_read2_b64 v[26:29], v23 offset0:144 offset1:200
	ds_read2_b64 v[48:51], v12 offset1:88
	ds_read2_b64 v[30:33], v24 offset0:32 offset1:88
	ds_read2_b64 v[52:55], v24 offset0:144 offset1:232
	;; [unrolled: 1-line block ×3, first 2 shown]
	ds_read2_b64 v[76:79], v23 offset1:56
	ds_read2_b64 v[72:75], v12 offset0:144 offset1:200
	ds_read2_b64 v[10:13], v13 offset0:32 offset1:88
	ds_read_b64 v[82:83], v213 offset:10496
                                        ; implicit-def: $vgpr80
	s_and_saveexec_b32 s1, s0
	s_cbranch_execz .LBB0_17
; %bb.16:
	v_add_nc_u32_e32 v8, 0x1100, v213
	v_add_nc_u32_e32 v9, 0x1e00, v213
	ds_read2_b64 v[56:59], v22 offset0:40 offset1:240
	ds_read2_b64 v[14:17], v8 offset0:24 offset1:224
	;; [unrolled: 1-line block ×3, first 2 shown]
	ds_read_b64 v[80:81], v213 offset:10944
.LBB0_17:
	s_or_b32 exec_lo, exec_lo, s1
	v_subrev_nc_u32_e32 v8, 40, v215
	v_cmp_gt_u16_e64 s1, 40, v215
	v_and_b32_e32 v18, 0xff, v85
	v_cndmask_b32_e64 v105, v8, v215, s1
	v_mul_lo_u16 v18, 0xcd, v18
	v_mul_i32_i24_e32 v8, 48, v105
	v_mul_hi_i32_i24_e32 v9, 48, v105
	v_lshrrev_b16 v96, 13, v18
	v_add_co_u32 v8, s1, s2, v8
	v_add_co_ci_u32_e64 v9, s1, s3, v9, s1
	v_mul_lo_u16 v18, v96, 40
	v_cmp_lt_u16_e64 s1, 39, v215
	s_clause 0x1
	global_load_dwordx4 v[20:23], v[8:9], off offset:304
	global_load_dwordx4 v[36:39], v[8:9], off offset:320
	v_sub_nc_u16 v18, v85, v18
	global_load_dwordx4 v[40:43], v[8:9], off offset:336
	v_and_b32_e32 v97, 0xff, v18
	v_mad_u64_u32 v[18:19], null, v97, 48, s[2:3]
	s_waitcnt vmcnt(2) lgkmcnt(8)
	v_mul_f32_e32 v24, v27, v23
	v_mul_f32_e32 v115, v26, v23
	s_waitcnt vmcnt(1) lgkmcnt(6)
	v_mul_f32_e32 v118, v30, v39
	v_mul_f32_e32 v124, v50, v37
	;; [unrolled: 1-line block ×3, first 2 shown]
	v_fma_f32 v116, v26, v22, -v24
	v_fmac_f32_e32 v115, v27, v22
	global_load_dwordx4 v[24:27], v[18:19], off offset:304
	v_fmac_f32_e32 v118, v31, v38
	v_fmac_f32_e32 v124, v51, v36
	;; [unrolled: 1-line block ×3, first 2 shown]
	s_waitcnt vmcnt(1) lgkmcnt(4)
	v_mul_f32_e32 v8, v45, v43
	v_mul_f32_e32 v120, v44, v43
	v_mul_f32_e32 v126, v54, v41
	v_add_f32_e32 v140, v124, v118
	v_fma_f32 v119, v44, v42, -v8
	v_fmac_f32_e32 v120, v45, v42
	v_fmac_f32_e32 v126, v55, v40
	v_add_f32_e32 v132, v129, v120
	v_add_f32_e32 v133, v115, v126
	v_sub_f32_e32 v115, v115, v126
	s_waitcnt vmcnt(0)
	v_mul_f32_e32 v34, v29, v27
	v_mul_f32_e32 v102, v28, v27
	s_waitcnt lgkmcnt(3)
	v_mul_f32_e32 v111, v76, v25
	v_fma_f32 v101, v28, v26, -v34
	v_mul_f32_e32 v28, v31, v39
	v_fmac_f32_e32 v102, v29, v26
	v_fmac_f32_e32 v111, v77, v24
	v_fma_f32 v117, v30, v38, -v28
	global_load_dwordx4 v[28:31], v[18:19], off offset:320
	s_waitcnt vmcnt(0)
	v_mul_f32_e32 v34, v33, v31
	v_mul_f32_e32 v104, v32, v31
	s_waitcnt lgkmcnt(2)
	v_mul_f32_e32 v113, v72, v29
	v_fma_f32 v103, v32, v30, -v34
	v_fmac_f32_e32 v104, v33, v30
	global_load_dwordx4 v[32:35], v[18:19], off offset:336
	v_fmac_f32_e32 v113, v73, v28
	v_add_f32_e32 v144, v113, v104
	s_waitcnt vmcnt(0)
	v_mul_f32_e32 v8, v47, v35
	v_mul_f32_e32 v107, v46, v35
	s_waitcnt lgkmcnt(1)
	v_mul_f32_e32 v122, v10, v33
	v_fma_f32 v106, v46, v34, -v8
	v_and_b32_e32 v8, 0xff, v84
	v_fmac_f32_e32 v107, v47, v34
	v_fmac_f32_e32 v122, v11, v32
	v_mul_lo_u16 v8, 0xcd, v8
	v_add_f32_e32 v138, v111, v107
	v_add_f32_e32 v139, v102, v122
	v_lshrrev_b16 v87, 13, v8
	v_mul_lo_u16 v8, v87, 40
	v_sub_nc_u16 v8, v84, v8
	v_and_b32_e32 v86, 0xff, v8
	v_mul_f32_e32 v8, v77, v25
	v_fma_f32 v110, v76, v24, -v8
	v_mad_u64_u32 v[8:9], null, v86, 48, s[2:3]
	v_add_f32_e32 v134, v110, v106
	global_load_dwordx4 v[44:47], v[8:9], off offset:304
	s_waitcnt vmcnt(0)
	v_mul_f32_e32 v18, v79, v45
	v_mul_f32_e32 v93, v48, v47
	;; [unrolled: 1-line block ×3, first 2 shown]
	v_fma_f32 v88, v78, v44, -v18
	v_mul_f32_e32 v18, v51, v37
	v_fmac_f32_e32 v93, v49, v46
	v_fmac_f32_e32 v89, v79, v44
	v_fma_f32 v123, v50, v36, -v18
	v_mul_f32_e32 v18, v49, v47
	v_add_f32_e32 v131, v123, v117
	v_fma_f32 v91, v48, v46, -v18
	global_load_dwordx4 v[48:51], v[8:9], off offset:320
	v_mul_f32_e32 v18, v73, v29
	v_fma_f32 v112, v72, v28, -v18
	v_add_f32_e32 v141, v112, v103
	s_waitcnt vmcnt(0)
	v_mul_f32_e32 v18, v75, v49
	v_mul_f32_e32 v100, v52, v51
	;; [unrolled: 1-line block ×3, first 2 shown]
	v_fma_f32 v94, v74, v48, -v18
	v_mul_f32_e32 v18, v55, v41
	v_fmac_f32_e32 v100, v53, v50
	v_fmac_f32_e32 v95, v75, v48
	v_fma_f32 v125, v54, v40, -v18
	v_mul_f32_e32 v18, v53, v51
	v_add_f32_e32 v150, v95, v100
	v_add_f32_e32 v130, v116, v125
	v_fma_f32 v99, v52, v50, -v18
	v_and_b32_e32 v18, 0xff, v92
	global_load_dwordx4 v[52:55], v[8:9], off offset:336
	v_sub_f32_e32 v116, v116, v125
	v_add_f32_e32 v147, v94, v99
	v_mul_lo_u16 v18, 0xcd, v18
	v_lshrrev_b16 v18, 13, v18
	v_mul_lo_u16 v18, v18, 40
	v_sub_nc_u16 v234, v92, v18
	v_mul_f32_e32 v18, v11, v33
	v_and_b32_e32 v72, 0xff, v234
	v_fma_f32 v121, v10, v32, -v18
	v_mad_u64_u32 v[18:19], null, v72, 48, s[2:3]
	v_add_f32_e32 v135, v101, v121
	global_load_dwordx4 v[8:11], v[18:19], off offset:304
	s_waitcnt vmcnt(1)
	v_mul_f32_e32 v73, v13, v53
	v_mul_f32_e32 v109, v12, v53
	v_fma_f32 v108, v12, v52, -v73
	v_fmac_f32_e32 v109, v13, v52
	v_add_f32_e32 v146, v93, v109
	s_waitcnt vmcnt(0)
	v_mul_f32_e32 v12, v15, v11
	v_mul_f32_e32 v74, v14, v11
	v_fma_f32 v73, v14, v10, -v12
	v_fmac_f32_e32 v74, v15, v10
	global_load_dwordx4 v[12:15], v[18:19], off offset:320
	s_waitcnt vmcnt(0)
	v_mul_f32_e32 v75, v17, v13
	v_mul_f32_e32 v76, v16, v13
	;; [unrolled: 1-line block ×3, first 2 shown]
	v_fma_f32 v75, v16, v12, -v75
	v_mul_f32_e32 v16, v61, v15
	v_fmac_f32_e32 v76, v17, v12
	v_fmac_f32_e32 v78, v61, v14
	v_fma_f32 v77, v60, v14, -v16
	global_load_dwordx4 v[16:19], v[18:19], off offset:336
	v_add_f32_e32 v226, v76, v78
	s_waitcnt vmcnt(0) lgkmcnt(0)
	s_barrier
	v_add_f32_e32 v151, v75, v77
	buffer_gl0_inv
	v_mul_f32_e32 v60, v63, v17
	v_mul_f32_e32 v90, v62, v17
	v_fma_f32 v79, v62, v16, -v60
	v_mul_f32_e32 v60, v67, v21
	v_mul_f32_e32 v62, v83, v55
	v_fmac_f32_e32 v90, v63, v16
	v_fma_f32 v128, v66, v20, -v60
	v_add_f32_e32 v212, v74, v90
	v_add_f32_e32 v127, v128, v119
	;; [unrolled: 1-line block ×7, first 2 shown]
	v_fma_f32 v68, v82, v54, -v62
	v_add_f32_e32 v60, v135, v134
	v_fmamk_f32 v136, v136, 0xbf955555, v66
	v_add_f32_e32 v67, v69, v137
	v_mul_f32_e32 v69, v82, v55
	v_add_f32_e32 v82, v88, v68
	v_add_f32_e32 v142, v141, v60
	;; [unrolled: 1-line block ×3, first 2 shown]
	v_fmamk_f32 v137, v137, 0xbf955555, v67
	v_fmac_f32_e32 v69, v83, v54
	v_add_f32_e32 v83, v91, v108
	v_add_f32_e32 v143, v144, v60
	;; [unrolled: 1-line block ×6, first 2 shown]
	v_mul_f32_e32 v71, v80, v19
	v_add_f32_e32 v148, v147, v62
	v_add_f32_e32 v62, v146, v145
	v_fmac_f32_e32 v71, v81, v18
	v_add_f32_e32 v149, v150, v62
	v_add_f32_e32 v62, v64, v148
	v_mul_f32_e32 v64, v81, v19
	v_add_f32_e32 v81, v73, v79
	v_add_f32_e32 v63, v65, v149
	v_fma_f32 v70, v80, v18, -v64
	v_mul_f32_e32 v64, v59, v9
	v_fma_f32 v80, v58, v8, -v64
	v_mul_f32_e32 v58, v58, v9
	v_fmac_f32_e32 v58, v59, v8
	v_add_f32_e32 v59, v80, v70
	v_add_f32_e32 v211, v58, v71
	;; [unrolled: 1-line block ×7, first 2 shown]
	v_cndmask_b32_e64 v56, 0, 0x118, s1
	v_add_f32_e32 v65, v57, v210
	v_sub_f32_e32 v57, v118, v124
	v_add_lshl_u32 v222, v105, v56, 3
	v_sub_f32_e32 v105, v128, v119
	v_sub_f32_e32 v56, v117, v123
	;; [unrolled: 1-line block ×6, first 2 shown]
	v_add_f32_e32 v124, v56, v116
	v_sub_f32_e32 v125, v56, v116
	v_sub_f32_e32 v126, v105, v56
	v_add_f32_e32 v56, v57, v115
	v_sub_f32_e32 v128, v57, v115
	v_mul_f32_e32 v117, 0x3f4a47b2, v117
	v_sub_f32_e32 v123, v140, v133
	v_sub_f32_e32 v129, v119, v57
	v_add_f32_e32 v131, v56, v119
	v_mul_f32_e32 v125, 0xbf08b237, v125
	v_mul_f32_e32 v120, 0x3f4a47b2, v120
	;; [unrolled: 1-line block ×3, first 2 shown]
	v_fmamk_f32 v56, v118, 0x3d64c772, v117
	v_add_f32_e32 v124, v124, v105
	v_fmamk_f32 v140, v126, 0x3eae86e6, v125
	v_fmamk_f32 v224, v129, 0x3eae86e6, v128
	v_add_f32_e32 v225, v56, v136
	v_fmamk_f32 v56, v123, 0x3d64c772, v120
	v_fmac_f32_e32 v140, 0x3ee1c552, v124
	v_fmac_f32_e32 v224, 0x3ee1c552, v131
	v_add_f32_e32 v227, v56, v137
	v_add_f32_e32 v56, v224, v225
	v_sub_f32_e32 v57, v227, v140
	ds_write2_b64 v222, v[66:67], v[56:57] offset1:40
	v_sub_f32_e32 v66, v116, v105
	v_sub_f32_e32 v67, v115, v119
	v_sub_f32_e32 v56, v130, v127
	v_sub_f32_e32 v57, v133, v132
	v_mul_f32_e32 v105, 0x3d64c772, v118
	v_fma_f32 v115, 0x3f5ff5aa, v66, -v125
	v_mul_f32_e32 v66, 0x3f5ff5aa, v66
	v_fma_f32 v105, 0x3f3bfb3b, v56, -v105
	v_fma_f32 v56, 0xbf3bfb3b, v56, -v117
	;; [unrolled: 1-line block ×3, first 2 shown]
	v_mul_f32_e32 v66, 0x3f5ff5aa, v67
	v_fma_f32 v117, 0x3f5ff5aa, v67, -v128
	v_fmac_f32_e32 v115, 0x3ee1c552, v124
	v_add_f32_e32 v105, v105, v136
	v_fmac_f32_e32 v116, 0x3ee1c552, v124
	v_fma_f32 v118, 0xbeae86e6, v129, -v66
	v_mul_f32_e32 v66, 0x3d64c772, v123
	v_fmac_f32_e32 v117, 0x3ee1c552, v131
	v_add_f32_e32 v119, v56, v136
	v_fmac_f32_e32 v118, 0x3ee1c552, v131
	v_fma_f32 v66, 0x3f3bfb3b, v57, -v66
	v_fma_f32 v57, 0xbf3bfb3b, v57, -v120
	v_add_f32_e32 v56, v118, v119
	v_add_f32_e32 v123, v66, v137
	;; [unrolled: 1-line block ×3, first 2 shown]
	v_sub_f32_e32 v66, v105, v117
	v_add_f32_e32 v67, v115, v123
	v_sub_f32_e32 v57, v120, v116
	ds_write2_b64 v222, v[56:57], v[66:67] offset0:80 offset1:120
	v_add_f32_e32 v56, v117, v105
	v_sub_f32_e32 v57, v123, v115
	v_sub_f32_e32 v66, v119, v118
	v_add_f32_e32 v67, v116, v120
	v_sub_f32_e32 v105, v144, v139
	v_fmamk_f32 v115, v142, 0xbf955555, v60
	v_fmamk_f32 v116, v143, 0xbf955555, v61
	ds_write2_b64 v222, v[56:57], v[66:67] offset0:160 offset1:200
	v_sub_f32_e32 v56, v225, v224
	v_add_f32_e32 v57, v140, v227
	v_mov_b32_e32 v66, 0x118
	v_sub_f32_e32 v67, v110, v106
	ds_write_b64 v222, v[56:57] offset:1920
	v_mul_u32_u24_sdwa v56, v96, v66 dst_sel:DWORD dst_unused:UNUSED_PAD src0_sel:WORD_0 src1_sel:DWORD
	v_sub_f32_e32 v57, v104, v113
	v_sub_f32_e32 v96, v111, v107
	v_sub_f32_e32 v104, v138, v144
	v_add_lshl_u32 v224, v56, v97, 3
	v_sub_f32_e32 v97, v101, v121
	v_sub_f32_e32 v101, v102, v122
	v_sub_f32_e32 v56, v103, v112
	v_sub_f32_e32 v102, v134, v141
	v_sub_f32_e32 v103, v141, v135
	v_sub_f32_e32 v112, v96, v57
	v_sub_f32_e32 v111, v57, v101
	v_add_f32_e32 v106, v56, v97
	v_sub_f32_e32 v107, v56, v97
	v_sub_f32_e32 v110, v67, v56
	v_add_f32_e32 v56, v57, v101
	v_mul_f32_e32 v102, 0x3f4a47b2, v102
	v_mul_f32_e32 v104, 0x3f4a47b2, v104
	;; [unrolled: 1-line block ×4, first 2 shown]
	v_add_f32_e32 v113, v56, v96
	v_fmamk_f32 v56, v103, 0x3d64c772, v102
	v_add_f32_e32 v106, v106, v67
	v_fmamk_f32 v117, v110, 0x3eae86e6, v107
	v_fmamk_f32 v118, v112, 0x3eae86e6, v111
	v_add_f32_e32 v119, v56, v115
	v_fmamk_f32 v56, v105, 0x3d64c772, v104
	v_fmac_f32_e32 v117, 0x3ee1c552, v106
	v_fmac_f32_e32 v118, 0x3ee1c552, v113
	v_add_f32_e32 v120, v56, v116
	v_add_f32_e32 v56, v118, v119
	v_sub_f32_e32 v57, v120, v117
	ds_write2_b64 v224, v[60:61], v[56:57] offset1:40
	v_sub_f32_e32 v60, v97, v67
	v_sub_f32_e32 v61, v101, v96
	;; [unrolled: 1-line block ×3, first 2 shown]
	v_mul_f32_e32 v67, 0x3d64c772, v103
	v_sub_f32_e32 v57, v139, v138
	v_fma_f32 v96, 0x3f5ff5aa, v60, -v107
	v_mul_f32_e32 v60, 0x3f5ff5aa, v60
	v_fma_f32 v101, 0x3f5ff5aa, v61, -v111
	v_fma_f32 v67, 0x3f3bfb3b, v56, -v67
	;; [unrolled: 1-line block ×3, first 2 shown]
	v_fmac_f32_e32 v96, 0x3ee1c552, v106
	v_fma_f32 v97, 0xbeae86e6, v110, -v60
	v_mul_f32_e32 v60, 0x3f5ff5aa, v61
	v_fmac_f32_e32 v101, 0x3ee1c552, v113
	v_add_f32_e32 v67, v67, v115
	v_add_f32_e32 v103, v56, v115
	v_fmac_f32_e32 v97, 0x3ee1c552, v106
	v_fma_f32 v102, 0xbeae86e6, v112, -v60
	v_mul_f32_e32 v60, 0x3d64c772, v105
	v_fmac_f32_e32 v102, 0x3ee1c552, v113
	v_fma_f32 v60, 0x3f3bfb3b, v57, -v60
	v_fma_f32 v57, 0xbf3bfb3b, v57, -v104
	v_add_f32_e32 v56, v102, v103
	v_add_f32_e32 v105, v60, v116
	;; [unrolled: 1-line block ×3, first 2 shown]
	v_sub_f32_e32 v60, v67, v101
	v_add_f32_e32 v61, v96, v105
	v_sub_f32_e32 v57, v104, v97
	ds_write2_b64 v224, v[56:57], v[60:61] offset0:80 offset1:120
	v_add_f32_e32 v56, v101, v67
	v_sub_f32_e32 v57, v105, v96
	v_sub_f32_e32 v60, v103, v102
	v_add_f32_e32 v61, v97, v104
	v_sub_f32_e32 v67, v93, v109
	v_fmamk_f32 v96, v148, 0xbf955555, v62
	v_fmamk_f32 v97, v149, 0xbf955555, v63
	ds_write2_b64 v224, v[56:57], v[60:61] offset0:160 offset1:200
	v_sub_f32_e32 v56, v119, v118
	v_add_f32_e32 v57, v117, v120
	v_sub_f32_e32 v60, v88, v68
	v_sub_f32_e32 v68, v82, v147
	;; [unrolled: 1-line block ×4, first 2 shown]
	ds_write_b64 v224, v[56:57] offset:1920
	v_mul_u32_u24_sdwa v56, v87, v66 dst_sel:DWORD dst_unused:UNUSED_PAD src0_sel:WORD_0 src1_sel:DWORD
	v_sub_f32_e32 v66, v91, v108
	v_sub_f32_e32 v57, v100, v95
	v_mul_f32_e32 v68, 0x3f4a47b2, v68
	v_sub_f32_e32 v87, v150, v146
	v_add_lshl_u32 v225, v56, v86, 3
	v_sub_f32_e32 v56, v99, v94
	v_sub_f32_e32 v86, v145, v150
	;; [unrolled: 1-line block ×4, first 2 shown]
	v_add_f32_e32 v88, v56, v66
	v_sub_f32_e32 v89, v56, v66
	v_sub_f32_e32 v91, v60, v56
	v_add_f32_e32 v56, v57, v67
	v_mul_f32_e32 v86, 0x3f4a47b2, v86
	v_mul_f32_e32 v93, 0xbf08b237, v93
	;; [unrolled: 1-line block ×3, first 2 shown]
	v_add_f32_e32 v88, v88, v60
	v_add_f32_e32 v95, v56, v61
	v_fmamk_f32 v56, v69, 0x3d64c772, v68
	v_fmamk_f32 v100, v94, 0x3eae86e6, v93
	;; [unrolled: 1-line block ×3, first 2 shown]
	v_sub_f32_e32 v60, v66, v60
	v_sub_f32_e32 v61, v67, v61
	v_add_f32_e32 v101, v56, v96
	v_fmamk_f32 v56, v87, 0x3d64c772, v86
	v_fmac_f32_e32 v99, 0x3ee1c552, v88
	v_fmac_f32_e32 v100, 0x3ee1c552, v95
	v_fma_f32 v67, 0x3f5ff5aa, v61, -v93
	v_add_f32_e32 v102, v56, v97
	v_add_f32_e32 v56, v100, v101
	v_fmac_f32_e32 v67, 0x3ee1c552, v95
	v_sub_f32_e32 v57, v102, v99
	ds_write2_b64 v225, v[62:63], v[56:57] offset1:40
	v_fma_f32 v63, 0x3f5ff5aa, v60, -v89
	v_mul_f32_e32 v60, 0x3f5ff5aa, v60
	v_sub_f32_e32 v56, v83, v82
	v_mul_f32_e32 v62, 0x3d64c772, v69
	v_sub_f32_e32 v57, v146, v145
	v_fmac_f32_e32 v63, 0x3ee1c552, v88
	v_fma_f32 v66, 0xbeae86e6, v91, -v60
	v_mul_f32_e32 v60, 0x3f5ff5aa, v61
	v_fma_f32 v62, 0x3f3bfb3b, v56, -v62
	v_fma_f32 v56, 0xbf3bfb3b, v56, -v68
	v_fmac_f32_e32 v66, 0x3ee1c552, v88
	v_fma_f32 v68, 0xbeae86e6, v94, -v60
	v_mul_f32_e32 v60, 0x3d64c772, v87
	v_add_f32_e32 v62, v62, v96
	v_add_f32_e32 v69, v56, v96
	v_fmac_f32_e32 v68, 0x3ee1c552, v95
	v_fma_f32 v60, 0x3f3bfb3b, v57, -v60
	v_fma_f32 v57, 0xbf3bfb3b, v57, -v86
	v_add_f32_e32 v56, v68, v69
	v_add_f32_e32 v83, v60, v97
	;; [unrolled: 1-line block ×3, first 2 shown]
	v_sub_f32_e32 v60, v62, v67
	v_add_f32_e32 v61, v63, v83
	v_sub_f32_e32 v57, v82, v66
	ds_write2_b64 v225, v[56:57], v[60:61] offset0:80 offset1:120
	v_add_f32_e32 v56, v67, v62
	v_sub_f32_e32 v57, v83, v63
	v_sub_f32_e32 v60, v69, v68
	v_add_f32_e32 v61, v66, v82
	v_sub_f32_e32 v62, v78, v76
	v_sub_f32_e32 v66, v151, v81
	;; [unrolled: 1-line block ×4, first 2 shown]
	ds_write2_b64 v225, v[56:57], v[60:61] offset0:160 offset1:200
	v_sub_f32_e32 v56, v80, v70
	v_sub_f32_e32 v57, v58, v71
	;; [unrolled: 1-line block ×9, first 2 shown]
	v_add_f32_e32 v70, v61, v58
	v_sub_f32_e32 v71, v61, v58
	v_sub_f32_e32 v73, v56, v61
	v_add_f32_e32 v61, v62, v60
	v_sub_f32_e32 v58, v58, v56
	v_add_f32_e32 v56, v70, v56
	v_sub_f32_e32 v70, v62, v60
	v_sub_f32_e32 v60, v60, v57
	v_add_f32_e32 v57, v61, v57
	v_mul_f32_e32 v61, 0x3d64c772, v66
	v_mul_f32_e32 v62, 0x3d64c772, v69
	;; [unrolled: 1-line block ×3, first 2 shown]
	v_sub_f32_e32 v82, v101, v100
	v_add_f32_e32 v83, v99, v102
	v_fma_f32 v76, 0x3f3bfb3b, v63, -v61
	v_mul_f32_e32 v61, 0x3f4a47b2, v68
	v_fma_f32 v78, 0x3f3bfb3b, v67, -v62
	v_mul_f32_e32 v62, 0x3f5ff5aa, v58
	v_fmamk_f32 v75, v66, 0x3d64c772, v59
	v_fma_f32 v59, 0xbf3bfb3b, v63, -v59
	v_fmamk_f32 v77, v69, 0x3d64c772, v61
	v_fma_f32 v79, 0xbf3bfb3b, v67, -v61
	v_mul_f32_e32 v61, 0xbf08b237, v71
	v_mul_f32_e32 v63, 0x3f5ff5aa, v60
	v_fma_f32 v62, 0xbeae86e6, v73, -v62
	ds_write_b64 v225, v[82:83] offset:1920
	v_fma_f32 v69, 0x3f5ff5aa, v58, -v61
	v_mul_f32_e32 v58, 0xbf08b237, v70
	v_fmamk_f32 v61, v73, 0x3eae86e6, v61
	v_fmac_f32_e32 v62, 0x3ee1c552, v56
	v_fmac_f32_e32 v69, 0x3ee1c552, v56
	v_fma_f32 v67, 0x3f5ff5aa, v60, -v58
	v_fmamk_f32 v66, v74, 0x3eae86e6, v58
	v_fmamk_f32 v58, v209, 0xbf955555, v64
	v_fma_f32 v60, 0xbeae86e6, v74, -v63
	v_fmac_f32_e32 v61, 0x3ee1c552, v56
	v_fmac_f32_e32 v67, 0x3ee1c552, v57
	;; [unrolled: 1-line block ×3, first 2 shown]
	v_add_f32_e32 v68, v75, v58
	v_add_f32_e32 v70, v76, v58
	;; [unrolled: 1-line block ×3, first 2 shown]
	v_fmamk_f32 v58, v210, 0xbf955555, v65
	v_fmac_f32_e32 v60, 0x3ee1c552, v57
	v_sub_f32_e32 v209, v68, v66
	v_add_f32_e32 v56, v67, v70
	v_add_f32_e32 v71, v77, v58
	;; [unrolled: 1-line block ×4, first 2 shown]
	v_sub_f32_e32 v58, v63, v60
	v_add_f32_e32 v210, v61, v71
	v_sub_f32_e32 v57, v74, v69
	v_add_f32_e32 v59, v62, v73
	s_and_saveexec_b32 s1, s0
	s_cbranch_execz .LBB0_19
; %bb.18:
	v_add_f32_e32 v75, v69, v74
	v_lshlrev_b32_e32 v69, 3, v72
	v_sub_f32_e32 v74, v70, v67
	v_sub_f32_e32 v67, v71, v61
	v_add_f32_e32 v66, v66, v68
	v_sub_f32_e32 v62, v73, v62
	v_add_nc_u32_e32 v68, 0x2000, v69
	v_add_f32_e32 v61, v60, v63
	v_add_nc_u32_e32 v60, 0x2800, v69
	ds_write2_b64 v68, v[64:65], v[66:67] offset0:96 offset1:136
	ds_write2_b64 v68, v[61:62], v[74:75] offset0:176 offset1:216
	ds_write2_b64 v60, v[56:57], v[58:59] offset1:40
	ds_write_b64 v69, v[209:210] offset:10880
.LBB0_19:
	s_or_b32 exec_lo, exec_lo, s1
	v_lshlrev_b32_e32 v60, 5, v215
	v_lshlrev_b32_e32 v64, 5, v85
	;; [unrolled: 1-line block ×3, first 2 shown]
	s_waitcnt lgkmcnt(0)
	s_barrier
	v_add_co_u32 v62, s1, s2, v60
	v_add_co_ci_u32_e64 v63, null, s3, 0, s1
	buffer_gl0_inv
	v_add_co_u32 v60, s1, 0x8b0, v62
	v_add_co_ci_u32_e64 v61, s1, 0, v63, s1
	v_add_co_u32 v66, s1, s2, v64
	v_add_co_ci_u32_e64 v67, null, s3, 0, s1
	v_add_co_u32 v62, s1, 0x800, v62
	v_add_co_ci_u32_e64 v63, s1, 0, v63, s1
	v_add_co_u32 v64, s1, 0x800, v66
	v_add_co_ci_u32_e64 v65, s1, 0, v67, s1
	v_add_co_u32 v84, s1, s2, v72
	s_clause 0x2
	global_load_dwordx4 v[80:83], v[62:63], off offset:176
	global_load_dwordx4 v[76:79], v[60:61], off offset:16
	;; [unrolled: 1-line block ×3, first 2 shown]
	v_add_co_ci_u32_e64 v85, null, s3, 0, s1
	v_add_co_u32 v60, s1, 0x8b0, v66
	v_add_co_ci_u32_e64 v61, s1, 0, v67, s1
	v_add_co_u32 v62, s1, 0x800, v84
	v_add_co_ci_u32_e64 v63, s1, 0, v85, s1
	s_clause 0x1
	global_load_dwordx4 v[72:75], v[60:61], off offset:16
	global_load_dwordx4 v[64:67], v[62:63], off offset:176
	v_add_co_u32 v60, s1, 0x8b0, v84
	v_add_co_ci_u32_e64 v61, s1, 0, v85, s1
	v_add_nc_u32_e32 v151, 0x1000, v213
	v_add_nc_u32_e32 v123, 0x2000, v213
	;; [unrolled: 1-line block ×3, first 2 shown]
	global_load_dwordx4 v[60:63], v[60:61], off offset:16
	v_add_nc_u32_e32 v119, 0x1800, v213
	ds_read2_b64 v[88:91], v151 offset0:48 offset1:104
	v_add_nc_u32_e32 v115, 0x400, v213
	ds_read2_b64 v[94:97], v123 offset0:96 offset1:152
	ds_read2_b64 v[108:111], v124 offset0:80 offset1:136
	;; [unrolled: 1-line block ×3, first 2 shown]
	ds_read2_b64 v[84:87], v213 offset1:56
	ds_read2_b64 v[100:103], v115 offset0:96 offset1:152
	ds_read2_b64 v[104:107], v119 offset0:16 offset1:72
	v_add_nc_u32_e32 v226, 0x2400, v213
	s_waitcnt vmcnt(5) lgkmcnt(6)
	v_mul_f32_e32 v112, v89, v83
	v_mul_f32_e32 v93, v88, v83
	s_waitcnt vmcnt(3)
	v_mul_f32_e32 v113, v91, v71
	v_mul_f32_e32 v122, v90, v71
	s_waitcnt lgkmcnt(0)
	v_mul_f32_e32 v133, v106, v77
	v_mul_f32_e32 v116, v95, v79
	;; [unrolled: 1-line block ×3, first 2 shown]
	v_fma_f32 v128, v90, v70, -v113
	v_mul_f32_e32 v90, v107, v77
	v_mul_f32_e32 v121, v109, v69
	v_fma_f32 v132, v88, v82, -v112
	v_fmac_f32_e32 v93, v89, v82
	v_mul_f32_e32 v89, v103, v81
	v_mul_f32_e32 v135, v102, v81
	s_waitcnt vmcnt(2)
	v_mul_f32_e32 v120, v97, v75
	s_waitcnt vmcnt(1)
	v_mul_f32_e32 v131, v111, v65
	v_mul_f32_e32 v140, v137, v73
	v_fma_f32 v141, v106, v76, -v90
	v_fmac_f32_e32 v133, v107, v76
	v_fma_f32 v134, v94, v78, -v116
	v_fmac_f32_e32 v99, v95, v78
	v_fma_f32 v129, v96, v74, -v120
	v_fma_f32 v130, v108, v68, -v121
	s_waitcnt vmcnt(0)
	v_mul_f32_e32 v88, v139, v61
	v_fma_f32 v120, v110, v64, -v131
	v_fma_f32 v131, v136, v72, -v140
	;; [unrolled: 1-line block ×3, first 2 shown]
	v_fmac_f32_e32 v135, v103, v80
	v_fma_f32 v121, v138, v60, -v88
	v_add_f32_e32 v88, v132, v141
	v_add_f32_e32 v89, v93, v133
	v_mul_f32_e32 v127, v136, v73
	v_fmac_f32_e32 v122, v91, v70
	v_sub_f32_e32 v90, v140, v132
	v_sub_f32_e32 v91, v134, v141
	;; [unrolled: 1-line block ×4, first 2 shown]
	v_fma_f32 v88, -0.5, v88, v84
	v_fma_f32 v89, -0.5, v89, v85
	v_mul_f32_e32 v118, v138, v61
	v_fmac_f32_e32 v127, v137, v72
	v_sub_f32_e32 v94, v135, v93
	v_sub_f32_e32 v95, v99, v133
	;; [unrolled: 1-line block ×4, first 2 shown]
	v_add_f32_e32 v137, v90, v91
	v_fmamk_f32 v90, v102, 0x3f737871, v88
	v_fmamk_f32 v91, v103, 0xbf737871, v89
	v_fmac_f32_e32 v118, v139, v60
	v_add_f32_e32 v139, v94, v95
	v_mul_f32_e32 v125, v96, v75
	v_fmac_f32_e32 v90, 0x3f167918, v136
	v_fmac_f32_e32 v91, 0xbf167918, v138
	v_mul_f32_e32 v126, v108, v69
	v_mul_f32_e32 v117, v110, v65
	v_add_nc_u32_e32 v116, 0x1c00, v213
	v_fmac_f32_e32 v90, 0x3e9e377a, v137
	v_fmac_f32_e32 v91, 0x3e9e377a, v139
	;; [unrolled: 1-line block ×5, first 2 shown]
	ds_read2_b64 v[110:113], v151 offset0:160 offset1:216
	ds_read2_b64 v[94:97], v226 offset0:80 offset1:136
	;; [unrolled: 1-line block ×3, first 2 shown]
	ds_write_b64 v213, v[90:91] offset:2240
	v_add_f32_e32 v90, v84, v140
	v_add_f32_e32 v91, v85, v135
	v_fmac_f32_e32 v88, 0xbf737871, v102
	v_fmac_f32_e32 v89, 0x3f737871, v103
	v_sub_f32_e32 v212, v122, v127
	v_add_f32_e32 v90, v90, v132
	v_add_f32_e32 v91, v91, v93
	v_sub_f32_e32 v132, v132, v140
	v_add_f32_e32 v140, v140, v134
	v_sub_f32_e32 v93, v93, v135
	;; [unrolled: 2-line block ×3, first 2 shown]
	v_add_f32_e32 v91, v91, v133
	v_fma_f32 v84, -0.5, v140, v84
	v_fmac_f32_e32 v88, 0xbf167918, v136
	v_add_f32_e32 v90, v90, v134
	v_add_f32_e32 v134, v135, v99
	;; [unrolled: 1-line block ×3, first 2 shown]
	v_sub_f32_e32 v99, v133, v99
	v_fmac_f32_e32 v89, 0x3f167918, v138
	v_fmac_f32_e32 v88, 0x3e9e377a, v137
	v_fma_f32 v85, -0.5, v134, v85
	v_add_f32_e32 v134, v132, v141
	v_fmamk_f32 v132, v136, 0xbf737871, v84
	v_fmac_f32_e32 v84, 0x3f737871, v136
	v_add_f32_e32 v93, v93, v99
	v_fmamk_f32 v133, v138, 0x3f737871, v85
	v_fmac_f32_e32 v85, 0xbf737871, v138
	v_fmac_f32_e32 v132, 0x3f167918, v102
	v_fmac_f32_e32 v84, 0xbf167918, v102
	v_fmac_f32_e32 v89, 0x3e9e377a, v139
	v_fmac_f32_e32 v133, 0xbf167918, v103
	v_fmac_f32_e32 v85, 0x3f167918, v103
	v_fmac_f32_e32 v132, 0x3e9e377a, v134
	v_fmac_f32_e32 v84, 0x3e9e377a, v134
	s_waitcnt lgkmcnt(2)
	v_mul_f32_e32 v149, v94, v63
	v_fmac_f32_e32 v133, 0x3e9e377a, v93
	v_fmac_f32_e32 v85, 0x3e9e377a, v93
	v_mul_f32_e32 v150, v110, v67
	v_sub_f32_e32 v227, v128, v131
	v_fmac_f32_e32 v149, v95, v62
	ds_write_b64 v213, v[132:133] offset:4480
	ds_read2_b64 v[132:135], v213 offset0:112 offset1:168
	ds_read2_b64 v[140:143], v124 offset0:192 offset1:248
	ds_write_b64 v213, v[84:85] offset:6720
	v_add_f32_e32 v84, v86, v130
	v_add_f32_e32 v85, v87, v126
	ds_write_b64 v213, v[88:89] offset:8960
	ds_read_b64 v[102:103], v213 offset:10752
	v_fmac_f32_e32 v150, v111, v66
	v_add_f32_e32 v84, v84, v128
	v_add_f32_e32 v85, v85, v122
	v_sub_f32_e32 v89, v118, v149
	v_sub_f32_e32 v230, v126, v125
	;; [unrolled: 1-line block ×3, first 2 shown]
	v_add_f32_e32 v84, v84, v131
	v_add_f32_e32 v85, v85, v127
	v_sub_f32_e32 v88, v150, v117
	v_sub_f32_e32 v231, v130, v129
	;; [unrolled: 1-line block ×3, first 2 shown]
	v_add_f32_e32 v84, v84, v129
	v_add_f32_e32 v85, v85, v125
	v_add_f32_e32 v211, v88, v89
	ds_write2_b64 v213, v[90:91], v[84:85] offset1:56
	v_add_f32_e32 v84, v128, v131
	v_add_f32_e32 v85, v130, v129
	v_fma_f32 v136, -0.5, v84, v86
	v_fma_f32 v86, -0.5, v85, v86
	v_sub_f32_e32 v84, v128, v130
	v_sub_f32_e32 v85, v131, v129
	v_add_f32_e32 v144, v84, v85
	v_add_f32_e32 v84, v122, v127
	v_sub_f32_e32 v85, v127, v125
	v_fma_f32 v137, -0.5, v84, v87
	v_add_f32_e32 v84, v126, v125
	v_fmac_f32_e32 v87, -0.5, v84
	v_sub_f32_e32 v84, v122, v126
	v_add_f32_e32 v145, v84, v85
	v_mul_f32_e32 v84, v111, v67
	v_fmamk_f32 v111, v227, 0x3f737871, v87
	v_fmac_f32_e32 v87, 0xbf737871, v227
	v_fma_f32 v146, v110, v66, -v84
	v_mul_f32_e32 v84, v95, v63
	v_fmamk_f32 v110, v212, 0xbf737871, v86
	v_fmac_f32_e32 v86, 0x3f737871, v212
	v_fmac_f32_e32 v87, 0x3f167918, v231
	v_sub_f32_e32 v229, v146, v121
	v_fma_f32 v147, v94, v62, -v84
	v_sub_f32_e32 v84, v146, v120
	v_fmac_f32_e32 v86, 0xbf167918, v230
	v_fmac_f32_e32 v87, 0x3e9e377a, v145
	;; [unrolled: 1-line block ×3, first 2 shown]
	v_sub_f32_e32 v85, v121, v147
	v_sub_f32_e32 v235, v120, v147
	v_fmac_f32_e32 v86, 0x3e9e377a, v144
	v_fmac_f32_e32 v111, 0xbf167918, v231
	;; [unrolled: 1-line block ×3, first 2 shown]
	v_add_f32_e32 v148, v84, v85
	v_add_f32_e32 v84, v120, v147
	;; [unrolled: 1-line block ×3, first 2 shown]
	v_fmac_f32_e32 v111, 0x3e9e377a, v145
	s_waitcnt lgkmcnt(5)
	v_fma_f32 v84, -0.5, v84, v132
	v_fma_f32 v85, -0.5, v85, v133
	v_fmamk_f32 v138, v228, 0xbf737871, v84
	v_fmac_f32_e32 v84, 0x3f737871, v228
	v_fmamk_f32 v139, v229, 0x3f737871, v85
	v_fmac_f32_e32 v85, 0xbf737871, v229
	v_fmac_f32_e32 v138, 0x3f167918, v232
	;; [unrolled: 1-line block ×9, first 2 shown]
	ds_write2_b64 v119, v[86:87], v[84:85] offset0:128 offset1:184
	v_lshlrev_b32_e32 v84, 5, v92
	v_add_co_u32 v86, s1, s2, v84
	v_add_co_ci_u32_e64 v87, null, s3, 0, s1
	v_add_co_u32 v84, s1, 0x800, v86
	v_add_co_ci_u32_e64 v85, s1, 0, v87, s1
	v_add_co_u32 v86, s1, 0x8b0, v86
	v_add_co_ci_u32_e64 v87, s1, 0, v87, s1
	s_clause 0x1
	global_load_dwordx4 v[92:95], v[84:85], off offset:176
	global_load_dwordx4 v[88:91], v[86:87], off offset:16
	s_waitcnt vmcnt(1)
	v_mul_f32_e32 v84, v113, v95
	s_waitcnt vmcnt(0)
	v_mul_f32_e32 v237, v96, v91
	v_mul_f32_e32 v241, v106, v89
	v_fma_f32 v236, v112, v94, -v84
	v_mul_f32_e32 v112, v112, v95
	v_mul_f32_e32 v84, v97, v91
	v_fmac_f32_e32 v237, v97, v90
	v_fmac_f32_e32 v241, v107, v88
	;; [unrolled: 1-line block ×3, first 2 shown]
	v_fma_f32 v113, v96, v90, -v84
	v_lshlrev_b32_e32 v84, 5, v98
	s_waitcnt lgkmcnt(5)
	v_mul_f32_e32 v96, v141, v93
	v_add_co_u32 v86, s1, s2, v84
	v_add_co_ci_u32_e64 v87, null, s3, 0, s1
	v_fma_f32 v238, v140, v92, -v96
	v_add_co_u32 v84, s1, 0x800, v86
	v_add_co_ci_u32_e64 v85, s1, 0, v87, s1
	v_add_co_u32 v86, s1, 0x8b0, v86
	v_add_co_ci_u32_e64 v87, s1, 0, v87, s1
	s_clause 0x1
	global_load_dwordx4 v[96:99], v[84:85], off offset:176
	global_load_dwordx4 v[84:87], v[86:87], off offset:16
	v_mul_f32_e32 v140, v140, v93
	ds_write2_b64 v151, v[110:111], v[138:139] offset0:104 offset1:160
	s_add_u32 s2, s12, 0x2bc0
	s_addc_u32 s3, s13, 0
	v_fmac_f32_e32 v140, v141, v92
	s_waitcnt vmcnt(1)
	v_mul_f32_e32 v141, v143, v97
	v_mul_f32_e32 v239, v104, v99
	s_waitcnt vmcnt(0)
	v_mul_f32_e32 v114, v108, v85
	v_fma_f32 v141, v142, v96, -v141
	v_mul_f32_e32 v142, v142, v97
	v_fmac_f32_e32 v239, v105, v98
	v_fmac_f32_e32 v114, v109, v84
	;; [unrolled: 1-line block ×3, first 2 shown]
	v_mul_f32_e32 v143, v105, v99
	v_sub_f32_e32 v105, v129, v131
	v_fma_f32 v143, v104, v98, -v143
	v_mul_f32_e32 v104, v107, v89
	v_sub_f32_e32 v107, v125, v127
	v_fma_f32 v240, v106, v88, -v104
	;; [unrolled: 3-line block ×3, first 2 shown]
	v_sub_f32_e32 v104, v130, v128
	v_add_f32_e32 v125, v106, v107
	v_sub_f32_e32 v106, v117, v150
	v_sub_f32_e32 v107, v149, v118
	v_add_f32_e32 v122, v104, v105
	v_sub_f32_e32 v104, v120, v146
	v_sub_f32_e32 v105, v147, v121
	v_add_f32_e32 v127, v106, v107
	v_fmamk_f32 v106, v230, 0x3f737871, v136
	v_fmamk_f32 v107, v231, 0xbf737871, v137
	v_fmac_f32_e32 v136, 0xbf737871, v230
	v_add_f32_e32 v126, v104, v105
	v_add_f32_e32 v104, v146, v121
	;; [unrolled: 1-line block ×3, first 2 shown]
	v_fmac_f32_e32 v137, 0x3f737871, v231
	v_fmac_f32_e32 v106, 0x3f167918, v212
	;; [unrolled: 1-line block ×3, first 2 shown]
	v_fma_f32 v104, -0.5, v104, v132
	v_fma_f32 v105, -0.5, v105, v133
	v_fmac_f32_e32 v136, 0xbf167918, v212
	v_fmac_f32_e32 v137, 0x3f167918, v227
	;; [unrolled: 1-line block ×3, first 2 shown]
	v_fmamk_f32 v108, v232, 0x3f737871, v104
	v_fmamk_f32 v109, v235, 0xbf737871, v105
	v_fmac_f32_e32 v104, 0xbf737871, v232
	v_fmac_f32_e32 v105, 0x3f737871, v235
	;; [unrolled: 1-line block ×13, first 2 shown]
	v_sub_f32_e32 v122, v237, v241
	ds_write2_b64 v124, v[106:107], v[108:109] offset0:80 offset1:136
	v_add_f32_e32 v106, v134, v238
	v_add_f32_e32 v107, v135, v140
	ds_write2_b64 v123, v[136:137], v[104:105] offset0:152 offset1:208
	v_add_f32_e32 v104, v132, v120
	v_add_f32_e32 v105, v133, v117
	v_add_f32_e32 v106, v106, v236
	v_add_f32_e32 v107, v107, v112
	v_sub_f32_e32 v117, v112, v241
	v_add_f32_e32 v104, v104, v146
	v_add_f32_e32 v105, v105, v150
	v_add_f32_e32 v106, v106, v240
	v_add_f32_e32 v107, v107, v241
	v_sub_f32_e32 v109, v140, v237
	;; [unrolled: 5-line block ×3, first 2 shown]
	v_add_f32_e32 v104, v104, v147
	v_add_f32_e32 v105, v105, v149
	v_sub_f32_e32 v120, v238, v113
	v_sub_f32_e32 v121, v238, v236
	ds_write2_b64 v213, v[104:105], v[106:107] offset0:112 offset1:168
	v_add_f32_e32 v104, v236, v240
	v_add_f32_e32 v105, v238, v113
	v_sub_f32_e32 v106, v240, v113
	v_sub_f32_e32 v107, v241, v237
	;; [unrolled: 1-line block ×3, first 2 shown]
	v_fma_f32 v104, -0.5, v104, v134
	v_fma_f32 v134, -0.5, v105, v134
	v_sub_f32_e32 v105, v236, v238
	v_add_f32_e32 v113, v121, v113
	v_fmamk_f32 v108, v109, 0x3f737871, v104
	v_fmac_f32_e32 v104, 0xbf737871, v109
	v_add_f32_e32 v110, v105, v106
	v_add_f32_e32 v105, v112, v241
	;; [unrolled: 1-line block ×3, first 2 shown]
	s_waitcnt lgkmcnt(6)
	v_mul_f32_e32 v121, v102, v87
	v_fmac_f32_e32 v104, 0xbf167918, v117
	v_fmac_f32_e32 v108, 0x3f167918, v117
	v_fma_f32 v105, -0.5, v105, v135
	v_fmac_f32_e32 v135, -0.5, v106
	v_sub_f32_e32 v106, v112, v140
	v_sub_f32_e32 v112, v140, v112
	v_fmac_f32_e32 v121, v103, v86
	v_fmac_f32_e32 v104, 0x3e9e377a, v113
	;; [unrolled: 1-line block ×3, first 2 shown]
	v_add_f32_e32 v111, v106, v107
	v_fmamk_f32 v106, v117, 0xbf737871, v134
	v_fmac_f32_e32 v134, 0x3f737871, v117
	v_fmamk_f32 v107, v118, 0x3f737871, v135
	v_fmac_f32_e32 v135, 0xbf737871, v118
	v_add_f32_e32 v112, v112, v122
	v_fmac_f32_e32 v106, 0x3f167918, v109
	v_fmac_f32_e32 v134, 0xbf167918, v109
	;; [unrolled: 1-line block ×4, first 2 shown]
	v_fmamk_f32 v109, v120, 0xbf737871, v105
	v_fmac_f32_e32 v105, 0x3f737871, v120
	v_mul_f32_e32 v120, v103, v87
	v_fmac_f32_e32 v134, 0x3e9e377a, v110
	v_fmac_f32_e32 v106, 0x3e9e377a, v110
	;; [unrolled: 1-line block ×4, first 2 shown]
	v_fma_f32 v110, v102, v86, -v120
	v_fmac_f32_e32 v107, 0x3e9e377a, v111
	v_sub_f32_e32 v102, v141, v143
	ds_write_b64 v213, v[134:135] offset:8064
	v_fmac_f32_e32 v105, 0x3e9e377a, v112
	v_sub_f32_e32 v103, v110, v242
	ds_write_b64 v213, v[106:107] offset:5824
	ds_write_b64 v213, v[104:105] offset:10304
	v_add_f32_e32 v104, v143, v242
	v_add_f32_e32 v105, v239, v114
	v_sub_f32_e32 v106, v142, v239
	v_sub_f32_e32 v107, v121, v114
	v_add_f32_e32 v111, v102, v103
	v_add_f32_e32 v102, v141, v110
	v_fmac_f32_e32 v109, 0xbf167918, v118
	v_fma_f32 v211, -0.5, v104, v100
	v_fma_f32 v212, -0.5, v105, v101
	v_add_f32_e32 v106, v106, v107
	v_sub_f32_e32 v107, v142, v121
	v_sub_f32_e32 v103, v143, v141
	v_sub_f32_e32 v104, v242, v110
	v_sub_f32_e32 v113, v141, v110
	v_add_f32_e32 v105, v100, v141
	v_fma_f32 v100, -0.5, v102, v100
	v_add_f32_e32 v102, v142, v121
	v_fmac_f32_e32 v109, 0x3e9e377a, v112
	v_sub_f32_e32 v112, v239, v114
	v_add_f32_e32 v117, v103, v104
	v_add_f32_e32 v120, v101, v142
	v_fmac_f32_e32 v101, -0.5, v102
	v_fmamk_f32 v102, v107, 0x3f737871, v211
	v_fmamk_f32 v103, v113, 0xbf737871, v212
	v_sub_f32_e32 v122, v143, v242
	v_sub_f32_e32 v104, v239, v142
	;; [unrolled: 1-line block ×3, first 2 shown]
	v_fmac_f32_e32 v102, 0x3f167918, v112
	v_add_f32_e32 v125, v105, v143
	v_fmac_f32_e32 v103, 0xbf167918, v122
	v_fmamk_f32 v105, v122, 0x3f737871, v101
	v_add_f32_e32 v118, v104, v118
	v_fmamk_f32 v104, v112, 0xbf737871, v100
	v_fmac_f32_e32 v100, 0x3f737871, v112
	v_fmac_f32_e32 v101, 0xbf737871, v122
	;; [unrolled: 1-line block ×4, first 2 shown]
	v_add_f32_e32 v120, v120, v239
	v_fmac_f32_e32 v102, 0x3e9e377a, v111
	v_fmac_f32_e32 v103, 0x3e9e377a, v106
	;; [unrolled: 1-line block ×8, first 2 shown]
	v_add_f32_e32 v125, v125, v242
	ds_write2_b64 v124, v[108:109], v[102:103] offset0:192 offset1:248
	v_add_f32_e32 v103, v120, v114
	v_fmac_f32_e32 v100, 0x3e9e377a, v117
	v_fmac_f32_e32 v101, 0x3e9e377a, v118
	;; [unrolled: 1-line block ×6, first 2 shown]
	v_lshlrev_b32_e32 v114, 3, v215
	v_add_f32_e32 v102, v125, v110
	v_add_f32_e32 v103, v103, v121
	ds_write_b64 v213, v[100:101] offset:8512
	ds_write_b64 v213, v[102:103] offset:1792
	;; [unrolled: 1-line block ×4, first 2 shown]
	s_waitcnt lgkmcnt(0)
	s_barrier
	buffer_gl0_inv
	s_clause 0x1
	global_load_dwordx2 v[106:107], v114, s[2:3]
	global_load_dwordx2 v[110:111], v114, s[2:3] offset:448
	v_add_co_u32 v122, s1, s2, v114
	v_add_co_ci_u32_e64 v231, null, s3, 0, s1
	v_lshlrev_b32_e32 v108, 3, v214
	v_add_co_u32 v100, s1, 0x1000, v122
	v_add_co_ci_u32_e64 v101, s1, 0, v231, s1
	s_clause 0x2
	global_load_dwordx2 v[112:113], v[100:101], off offset:1504
	global_load_dwordx2 v[117:118], v[100:101], off offset:1952
	global_load_dwordx2 v[120:121], v114, s[2:3] offset:896
	ds_read2_b64 v[102:105], v213 offset1:56
	global_load_dwordx2 v[125:126], v108, s[2:3]
	s_waitcnt vmcnt(5) lgkmcnt(0)
	v_mul_f32_e32 v109, v103, v107
	v_mul_f32_e32 v108, v102, v107
	s_waitcnt vmcnt(4)
	v_mul_f32_e32 v128, v104, v111
	v_fma_f32 v107, v102, v106, -v109
	v_fmac_f32_e32 v108, v103, v106
	v_mul_f32_e32 v102, v105, v111
	v_fmac_f32_e32 v128, v105, v110
	ds_write_b64 v213, v[107:108]
	ds_read2_b64 v[106:109], v151 offset0:188 offset1:244
	v_fma_f32 v127, v104, v110, -v102
	v_add_co_u32 v110, s1, 0x1800, v122
	v_add_co_ci_u32_e64 v111, s1, 0, v231, s1
	s_clause 0x1
	global_load_dwordx2 v[129:130], v[110:111], off offset:352
	global_load_dwordx2 v[131:132], v[110:111], off offset:800
	s_waitcnt vmcnt(5) lgkmcnt(0)
	v_mul_f32_e32 v102, v107, v113
	v_mul_f32_e32 v134, v106, v113
	s_waitcnt vmcnt(4)
	v_mul_f32_e32 v113, v108, v118
	v_fma_f32 v133, v106, v112, -v102
	v_mul_f32_e32 v102, v109, v118
	v_fmac_f32_e32 v134, v107, v112
	v_fmac_f32_e32 v113, v109, v117
	v_fma_f32 v112, v108, v117, -v102
	ds_read2_b64 v[102:105], v213 offset0:112 offset1:168
	s_waitcnt vmcnt(3) lgkmcnt(0)
	v_mul_f32_e32 v106, v103, v121
	v_mul_f32_e32 v109, v102, v121
	v_fma_f32 v108, v102, v120, -v106
	v_fmac_f32_e32 v109, v103, v120
	s_clause 0x3
	global_load_dwordx2 v[102:103], v114, s[2:3] offset:1344
	global_load_dwordx2 v[106:107], v114, s[2:3] offset:1792
	global_load_dwordx2 v[117:118], v[100:101], off offset:384
	global_load_dwordx2 v[120:121], v[100:101], off offset:832
	s_waitcnt vmcnt(3)
	v_mul_f32_e32 v114, v105, v103
	v_mul_f32_e32 v136, v104, v103
	v_fma_f32 v135, v104, v102, -v114
	v_fmac_f32_e32 v136, v105, v102
	ds_read2_b64 v[102:105], v119 offset0:44 offset1:100
	s_waitcnt lgkmcnt(0)
	v_mul_f32_e32 v114, v103, v130
	v_mul_f32_e32 v138, v102, v130
	;; [unrolled: 1-line block ×3, first 2 shown]
	v_fma_f32 v137, v102, v129, -v114
	v_mul_f32_e32 v102, v105, v132
	v_fmac_f32_e32 v138, v103, v129
	v_fmac_f32_e32 v130, v105, v131
	v_fma_f32 v129, v104, v131, -v102
	ds_read2_b64 v[102:105], v115 offset0:96 offset1:152
	s_waitcnt vmcnt(2) lgkmcnt(0)
	v_mul_f32_e32 v114, v103, v107
	v_mul_f32_e32 v132, v102, v107
	v_fma_f32 v131, v102, v106, -v114
	v_fmac_f32_e32 v132, v103, v106
	v_add_co_u32 v106, s1, 0x800, v122
	v_add_co_ci_u32_e64 v107, s1, 0, v231, s1
	s_clause 0x3
	global_load_dwordx2 v[102:103], v[106:107], off offset:192
	global_load_dwordx2 v[139:140], v[106:107], off offset:640
	;; [unrolled: 1-line block ×4, first 2 shown]
	s_waitcnt vmcnt(3)
	v_mul_f32_e32 v114, v105, v103
	v_mul_f32_e32 v144, v104, v103
	v_fma_f32 v143, v104, v102, -v114
	v_fmac_f32_e32 v144, v105, v102
	ds_read2_b64 v[102:105], v119 offset0:156 offset1:212
	s_waitcnt vmcnt(0) lgkmcnt(0)
	v_mul_f32_e32 v114, v103, v111
	v_mul_f32_e32 v146, v102, v111
	;; [unrolled: 1-line block ×3, first 2 shown]
	v_fma_f32 v145, v102, v110, -v114
	v_mul_f32_e32 v102, v105, v142
	v_fmac_f32_e32 v146, v103, v110
	v_fmac_f32_e32 v111, v105, v141
	v_fma_f32 v110, v104, v141, -v102
	ds_read2_b64 v[102:105], v124 offset0:80 offset1:136
	s_waitcnt lgkmcnt(0)
	v_mul_f32_e32 v114, v103, v140
	v_mul_f32_e32 v142, v102, v140
	v_fma_f32 v141, v102, v139, -v114
	v_fmac_f32_e32 v142, v103, v139
	v_add_co_u32 v139, s1, 0x2000, v122
	v_add_co_ci_u32_e64 v140, s1, 0, v231, s1
	s_clause 0x3
	global_load_dwordx2 v[102:103], v[106:107], off offset:1088
	global_load_dwordx2 v[147:148], v[139:140], off offset:544
	;; [unrolled: 1-line block ×4, first 2 shown]
	s_waitcnt vmcnt(3)
	v_mul_f32_e32 v114, v105, v103
	v_mul_f32_e32 v150, v104, v103
	v_fma_f32 v149, v104, v102, -v114
	v_fmac_f32_e32 v150, v105, v102
	ds_read2_b64 v[102:105], v123 offset0:12 offset1:68
	s_waitcnt vmcnt(0) lgkmcnt(0)
	v_mul_f32_e32 v114, v103, v228
	v_mul_f32_e32 v230, v102, v228
	;; [unrolled: 1-line block ×3, first 2 shown]
	v_fma_f32 v229, v102, v227, -v114
	v_mul_f32_e32 v102, v105, v148
	v_fmac_f32_e32 v230, v103, v227
	v_fmac_f32_e32 v228, v105, v147
	v_fma_f32 v227, v104, v147, -v102
	ds_read2_b64 v[102:105], v124 offset0:192 offset1:248
	s_waitcnt lgkmcnt(0)
	v_mul_f32_e32 v114, v103, v126
	v_mul_f32_e32 v148, v102, v126
	;; [unrolled: 1-line block ×3, first 2 shown]
	v_fma_f32 v147, v102, v125, -v114
	v_mul_f32_e32 v102, v105, v107
	v_fmac_f32_e32 v148, v103, v125
	v_fmac_f32_e32 v126, v105, v106
	v_fma_f32 v125, v104, v106, -v102
	v_add_co_u32 v102, s1, 0x2800, v122
	v_add_co_ci_u32_e64 v103, s1, 0, v231, s1
	s_clause 0x3
	global_load_dwordx2 v[231:232], v[139:140], off offset:992
	global_load_dwordx2 v[235:236], v[139:140], off offset:1440
	;; [unrolled: 1-line block ×4, first 2 shown]
	ds_read2_b64 v[104:107], v123 offset0:124 offset1:180
	s_waitcnt vmcnt(3) lgkmcnt(0)
	v_mul_f32_e32 v114, v105, v232
	v_mul_f32_e32 v240, v104, v232
	s_waitcnt vmcnt(2)
	v_mul_f32_e32 v232, v106, v236
	v_fma_f32 v239, v104, v231, -v114
	v_mul_f32_e32 v104, v107, v236
	v_fmac_f32_e32 v240, v105, v231
	v_fmac_f32_e32 v232, v107, v235
	v_fma_f32 v231, v106, v235, -v104
	ds_read2_b64 v[104:107], v151 offset0:48 offset1:104
	s_waitcnt lgkmcnt(0)
	v_mul_f32_e32 v114, v105, v118
	v_mul_f32_e32 v236, v104, v118
	;; [unrolled: 1-line block ×3, first 2 shown]
	v_fma_f32 v235, v104, v117, -v114
	v_mul_f32_e32 v104, v107, v121
	v_fmac_f32_e32 v236, v105, v117
	v_fmac_f32_e32 v118, v107, v120
	v_fma_f32 v117, v106, v120, -v104
	ds_read2_b64 v[104:107], v226 offset0:108 offset1:164
	s_waitcnt vmcnt(1) lgkmcnt(0)
	v_mul_f32_e32 v114, v105, v140
	v_mul_f32_e32 v121, v104, v140
	v_fma_f32 v120, v104, v139, -v114
	s_waitcnt vmcnt(0)
	v_mul_f32_e32 v104, v107, v238
	v_fmac_f32_e32 v121, v105, v139
	v_mul_f32_e32 v105, v106, v238
	v_fma_f32 v104, v106, v237, -v104
	v_add_nc_u32_e32 v106, 0x1400, v213
	ds_write2_b64 v106, v[112:113], v[137:138] offset0:116 offset1:172
	ds_write2_b64 v116, v[110:111], v[229:230] offset0:84 offset1:140
	v_add_nc_u32_e32 v106, 0xc00, v213
	v_fmac_f32_e32 v105, v107, v237
	ds_write2_b64 v106, v[125:126], v[235:236] offset0:120 offset1:176
	ds_write2_b64 v213, v[127:128], v[108:109] offset0:56 offset1:112
	;; [unrolled: 1-line block ×9, first 2 shown]
	ds_write_b64 v213, v[104:105] offset:10528
	s_and_saveexec_b32 s1, vcc_lo
	s_cbranch_execz .LBB0_21
; %bb.20:
	s_clause 0x1
	global_load_dwordx2 v[100:101], v[100:101], off offset:1280
	global_load_dwordx2 v[102:103], v[102:103], off offset:736
	ds_read_b64 v[104:105], v213 offset:5376
	ds_read_b64 v[106:107], v213 offset:10976
	s_waitcnt vmcnt(1) lgkmcnt(1)
	v_mul_f32_e32 v108, v105, v101
	v_mul_f32_e32 v109, v104, v101
	s_waitcnt vmcnt(0) lgkmcnt(0)
	v_mul_f32_e32 v110, v107, v103
	v_mul_f32_e32 v101, v106, v103
	v_fma_f32 v108, v104, v100, -v108
	v_fmac_f32_e32 v109, v105, v100
	v_fma_f32 v100, v106, v102, -v110
	v_fmac_f32_e32 v101, v107, v102
	ds_write_b64 v213, v[108:109] offset:5376
	ds_write_b64 v213, v[100:101] offset:10976
.LBB0_21:
	s_or_b32 exec_lo, exec_lo, s1
	s_waitcnt lgkmcnt(0)
	s_barrier
	buffer_gl0_inv
	ds_read2_b64 v[139:142], v213 offset1:56
	ds_read2_b64 v[147:150], v151 offset0:188 offset1:244
	ds_read2_b64 v[127:130], v213 offset0:112 offset1:168
	;; [unrolled: 1-line block ×11, first 2 shown]
	v_lshlrev_b32_e32 v228, 3, v246
	v_lshlrev_b32_e32 v227, 3, v248
	;; [unrolled: 1-line block ×6, first 2 shown]
	s_and_saveexec_b32 s1, vcc_lo
	s_cbranch_execz .LBB0_23
; %bb.22:
	ds_read_b64 v[211:212], v213 offset:5376
	ds_read_b64 v[56:57], v213 offset:10976
.LBB0_23:
	s_or_b32 exec_lo, exec_lo, s1
	s_waitcnt lgkmcnt(10)
	v_sub_f32_e32 v147, v139, v147
	v_sub_f32_e32 v148, v140, v148
	s_waitcnt lgkmcnt(8)
	v_sub_f32_e32 v237, v129, v145
	v_sub_f32_e32 v238, v130, v146
	s_waitcnt lgkmcnt(0)
	v_sub_f32_e32 v102, v211, v56
	v_fma_f32 v145, v139, 2.0, -v147
	v_fma_f32 v146, v140, 2.0, -v148
	v_lshlrev_b32_e32 v56, 4, v215
	s_barrier
	buffer_gl0_inv
	v_sub_f32_e32 v231, v141, v149
	ds_write_b128 v56, v[145:148]
	buffer_load_dword v56, off, s[16:19], 0 offset:4 ; 4-byte Folded Reload
	v_sub_f32_e32 v232, v142, v150
	v_sub_f32_e32 v143, v127, v143
	v_fma_f32 v229, v141, 2.0, -v231
	v_sub_f32_e32 v144, v128, v144
	v_fma_f32 v235, v129, 2.0, -v237
	v_fma_f32 v230, v142, 2.0, -v232
	;; [unrolled: 1-line block ×5, first 2 shown]
	v_sub_f32_e32 v139, v119, v131
	v_sub_f32_e32 v129, v115, v135
	;; [unrolled: 1-line block ×5, first 2 shown]
	v_fma_f32 v137, v119, 2.0, -v139
	v_sub_f32_e32 v119, v109, v125
	v_sub_f32_e32 v136, v118, v138
	v_sub_f32_e32 v140, v120, v132
	v_sub_f32_e32 v241, v121, v133
	v_sub_f32_e32 v242, v122, v134
	v_fma_f32 v127, v115, 2.0, -v129
	v_fma_f32 v128, v116, 2.0, -v130
	;; [unrolled: 1-line block ×3, first 2 shown]
	v_sub_f32_e32 v115, v107, v123
	v_sub_f32_e32 v116, v108, v124
	v_fma_f32 v117, v109, 2.0, -v119
	v_fma_f32 v109, v103, 2.0, -v111
	v_sub_f32_e32 v103, v212, v57
	v_fma_f32 v134, v118, 2.0, -v136
	v_fma_f32 v138, v120, 2.0, -v140
	v_sub_f32_e32 v120, v110, v126
	v_sub_f32_e32 v112, v104, v112
	v_fma_f32 v239, v121, 2.0, -v241
	v_fma_f32 v240, v122, 2.0, -v242
	v_sub_f32_e32 v123, v105, v113
	v_sub_f32_e32 v124, v106, v114
	v_fma_f32 v113, v107, 2.0, -v115
	v_fma_f32 v114, v108, 2.0, -v116
	;; [unrolled: 1-line block ×8, first 2 shown]
	s_waitcnt vmcnt(0)
	ds_write_b128 v56, v[229:232]
	buffer_load_dword v56, off, s[16:19], 0 offset:8 ; 4-byte Folded Reload
	s_waitcnt vmcnt(0)
	ds_write_b128 v56, v[141:144]
	buffer_load_dword v56, off, s[16:19], 0 offset:12 ; 4-byte Folded Reload
	;; [unrolled: 3-line block ×3, first 2 shown]
	s_waitcnt vmcnt(0)
	ds_write_b128 v56, v[127:130]
	ds_write_b128 v228, v[133:136]
	;; [unrolled: 1-line block ×4, first 2 shown]
	v_lshlrev_b32_e32 v56, 4, v214
	ds_write_b128 v56, v[113:116]
	ds_write_b128 v246, v[117:120]
	;; [unrolled: 1-line block ×4, first 2 shown]
	s_and_saveexec_b32 s1, vcc_lo
	s_cbranch_execz .LBB0_25
; %bb.24:
	buffer_load_dword v56, off, s[16:19], 0 offset:84 ; 4-byte Folded Reload
	s_waitcnt vmcnt(0)
	ds_write_b128 v56, v[100:103]
.LBB0_25:
	s_or_b32 exec_lo, exec_lo, s1
	v_add_nc_u32_e32 v56, 0x1000, v213
	v_add_nc_u32_e32 v57, 0x1800, v213
	;; [unrolled: 1-line block ×5, first 2 shown]
	s_waitcnt lgkmcnt(0)
	s_barrier
	buffer_gl0_inv
	ds_read2_b64 v[120:123], v213 offset1:56
	ds_read2_b64 v[148:151], v56 offset0:188 offset1:244
	ds_read2_b64 v[112:115], v213 offset0:112 offset1:168
	;; [unrolled: 1-line block ×6, first 2 shown]
	v_add_nc_u32_e32 v57, 0x2400, v213
	ds_read2_b64 v[140:143], v106 offset0:12 offset1:68
	ds_read2_b64 v[116:119], v105 offset0:192 offset1:248
	;; [unrolled: 1-line block ×5, first 2 shown]
	s_and_saveexec_b32 s1, vcc_lo
	s_cbranch_execz .LBB0_27
; %bb.26:
	ds_read_b64 v[100:101], v213 offset:5376
	ds_read_b64 v[102:103], v213 offset:10976
.LBB0_27:
	s_or_b32 exec_lo, exec_lo, s1
	s_waitcnt lgkmcnt(10)
	v_mul_f32_e32 v56, v206, v149
	v_mul_f32_e32 v57, v206, v148
	;; [unrolled: 1-line block ×4, first 2 shown]
	s_waitcnt lgkmcnt(2)
	v_mul_f32_e32 v226, v206, v133
	v_fmac_f32_e32 v56, v205, v148
	v_fma_f32 v57, v205, v149, -v57
	v_mul_f32_e32 v148, v206, v145
	v_mul_f32_e32 v149, v206, v144
	v_fmac_f32_e32 v211, v205, v150
	v_mul_f32_e32 v150, v206, v147
	v_fma_f32 v151, v205, v151, -v212
	v_fmac_f32_e32 v148, v205, v144
	v_fma_f32 v144, v205, v145, -v149
	v_mul_f32_e32 v145, v206, v146
	v_mul_f32_e32 v212, v206, v139
	v_fmac_f32_e32 v150, v205, v146
	v_mul_f32_e32 v146, v206, v137
	v_mul_f32_e32 v149, v206, v136
	v_fma_f32 v145, v205, v147, -v145
	v_mul_f32_e32 v147, v206, v138
	v_fmac_f32_e32 v212, v205, v138
	v_mul_f32_e32 v138, v206, v141
	v_fmac_f32_e32 v146, v205, v136
	v_fma_f32 v136, v205, v137, -v149
	v_fma_f32 v137, v205, v139, -v147
	v_mul_f32_e32 v139, v206, v140
	v_mul_f32_e32 v149, v206, v142
	v_fmac_f32_e32 v138, v205, v140
	v_mul_f32_e32 v140, v206, v132
	v_mul_f32_e32 v147, v206, v143
	v_fma_f32 v139, v205, v141, -v139
	v_fma_f32 v141, v205, v143, -v149
	s_waitcnt lgkmcnt(0)
	v_mul_f32_e32 v227, v206, v129
	v_fma_f32 v143, v205, v133, -v140
	v_mul_f32_e32 v133, v206, v128
	v_mul_f32_e32 v231, v206, v103
	v_fmac_f32_e32 v226, v205, v132
	v_fmac_f32_e32 v227, v205, v128
	v_sub_f32_e32 v128, v120, v56
	v_fma_f32 v230, v205, v129, -v133
	v_mul_f32_e32 v129, v206, v130
	v_fmac_f32_e32 v231, v205, v102
	v_mul_f32_e32 v132, v206, v134
	v_mul_f32_e32 v229, v206, v131
	v_fma_f32 v56, v205, v131, -v129
	v_sub_f32_e32 v131, v123, v151
	v_fma_f32 v228, v205, v135, -v132
	v_mul_f32_e32 v132, v206, v102
	v_fma_f32 v102, v120, 2.0, -v128
	v_sub_f32_e32 v151, v107, v56
	v_sub_f32_e32 v56, v100, v231
	;; [unrolled: 1-line block ×3, first 2 shown]
	s_barrier
	buffer_gl0_inv
	v_mul_f32_e32 v149, v206, v135
	v_fma_f32 v148, v100, 2.0, -v56
	buffer_load_dword v100, off, s[16:19], 0 offset:64 ; 4-byte Folded Reload
	v_sub_f32_e32 v129, v121, v57
	v_fmac_f32_e32 v147, v205, v142
	v_fmac_f32_e32 v149, v205, v134
	;; [unrolled: 1-line block ×3, first 2 shown]
	v_fma_f32 v205, v205, v103, -v132
	v_fma_f32 v103, v121, 2.0, -v129
	v_sub_f32_e32 v130, v122, v211
	v_fma_f32 v123, v123, 2.0, -v131
	v_sub_f32_e32 v121, v113, v144
	;; [unrolled: 2-line block ×20, first 2 shown]
	v_fma_f32 v105, v105, 2.0, -v147
	v_fma_f32 v107, v107, 2.0, -v151
	;; [unrolled: 1-line block ×4, first 2 shown]
	s_waitcnt vmcnt(0)
	ds_write2_b64 v100, v[102:103], v[128:129] offset1:2
	buffer_load_dword v100, off, s[16:19], 0 offset:60 ; 4-byte Folded Reload
	s_waitcnt vmcnt(0)
	ds_write2_b64 v100, v[122:123], v[130:131] offset1:2
	buffer_load_dword v100, off, s[16:19], 0 offset:56 ; 4-byte Folded Reload
	;; [unrolled: 3-line block ×11, first 2 shown]
	s_waitcnt vmcnt(0)
	ds_write2_b64 v100, v[106:107], v[150:151] offset1:2
	s_and_saveexec_b32 s1, vcc_lo
	s_cbranch_execz .LBB0_29
; %bb.28:
	buffer_load_dword v100, off, s[16:19], 0 ; 4-byte Folded Reload
	s_waitcnt vmcnt(0)
	v_and_or_b32 v100, 0x57c, v100, v217
	v_lshlrev_b32_e32 v100, 3, v100
	ds_write2_b64 v100, v[148:149], v[56:57] offset1:2
.LBB0_29:
	s_or_b32 exec_lo, exec_lo, s1
	v_add_nc_u32_e32 v104, 0x1000, v213
	v_add_nc_u32_e32 v100, 0x1800, v213
	;; [unrolled: 1-line block ×6, first 2 shown]
	s_waitcnt lgkmcnt(0)
	s_barrier
	buffer_gl0_inv
	ds_read2_b64 v[112:115], v213 offset1:56
	ds_read2_b64 v[144:147], v104 offset0:188 offset1:244
	ds_read2_b64 v[116:119], v213 offset0:112 offset1:168
	;; [unrolled: 1-line block ×11, first 2 shown]
	s_and_saveexec_b32 s1, vcc_lo
	s_cbranch_execz .LBB0_31
; %bb.30:
	ds_read_b64 v[148:149], v213 offset:5376
	ds_read_b64 v[56:57], v213 offset:10976
.LBB0_31:
	s_or_b32 exec_lo, exec_lo, s1
	s_waitcnt lgkmcnt(10)
	v_mul_f32_e32 v150, v208, v145
	v_mul_f32_e32 v151, v208, v144
	;; [unrolled: 1-line block ×4, first 2 shown]
	s_waitcnt lgkmcnt(8)
	v_mul_f32_e32 v211, v208, v141
	v_fmac_f32_e32 v150, v207, v144
	v_fma_f32 v144, v207, v145, -v151
	v_fmac_f32_e32 v205, v207, v146
	v_fma_f32 v145, v207, v147, -v206
	v_mul_f32_e32 v146, v208, v140
	v_fmac_f32_e32 v211, v207, v140
	v_mul_f32_e32 v140, v208, v143
	v_mul_f32_e32 v147, v208, v142
	s_waitcnt lgkmcnt(6)
	v_mul_f32_e32 v151, v208, v133
	v_fma_f32 v141, v207, v141, -v146
	v_mul_f32_e32 v146, v208, v132
	v_fmac_f32_e32 v140, v207, v142
	v_fma_f32 v142, v207, v143, -v147
	v_mul_f32_e32 v143, v208, v135
	s_waitcnt lgkmcnt(4)
	v_mul_f32_e32 v147, v208, v136
	v_fmac_f32_e32 v151, v207, v132
	v_mul_f32_e32 v132, v208, v134
	v_fma_f32 v133, v207, v133, -v146
	v_fmac_f32_e32 v143, v207, v134
	s_waitcnt lgkmcnt(2)
	v_mul_f32_e32 v134, v208, v128
	v_mul_f32_e32 v146, v208, v137
	v_fma_f32 v137, v207, v137, -v147
	v_mul_f32_e32 v147, v208, v129
	v_fma_f32 v135, v207, v135, -v132
	v_fma_f32 v217, v207, v129, -v134
	s_waitcnt lgkmcnt(0)
	v_mul_f32_e32 v129, v208, v126
	v_mul_f32_e32 v132, v208, v138
	v_fmac_f32_e32 v147, v207, v128
	v_mul_f32_e32 v226, v208, v125
	v_mul_f32_e32 v128, v208, v124
	;; [unrolled: 1-line block ×3, first 2 shown]
	v_fma_f32 v231, v207, v127, -v129
	v_mul_f32_e32 v127, v208, v56
	v_mul_f32_e32 v206, v208, v139
	v_mul_f32_e32 v212, v208, v131
	v_fma_f32 v139, v207, v139, -v132
	v_mul_f32_e32 v132, v208, v130
	v_fmac_f32_e32 v146, v207, v136
	v_fmac_f32_e32 v226, v207, v124
	v_fma_f32 v230, v207, v125, -v128
	v_sub_f32_e32 v124, v112, v150
	v_sub_f32_e32 v125, v113, v144
	v_mul_f32_e32 v229, v208, v57
	v_fmac_f32_e32 v228, v207, v126
	v_sub_f32_e32 v126, v114, v205
	v_fma_f32 v57, v207, v57, -v127
	v_sub_f32_e32 v127, v115, v145
	v_sub_f32_e32 v128, v116, v211
	;; [unrolled: 1-line block ×3, first 2 shown]
	v_fmac_f32_e32 v212, v207, v130
	v_fma_f32 v227, v207, v131, -v132
	v_sub_f32_e32 v130, v118, v140
	v_sub_f32_e32 v131, v119, v142
	;; [unrolled: 1-line block ×4, first 2 shown]
	v_fma_f32 v112, v112, 2.0, -v124
	v_fma_f32 v113, v113, 2.0, -v125
	v_sub_f32_e32 v134, v122, v143
	v_sub_f32_e32 v135, v123, v135
	;; [unrolled: 1-line block ×4, first 2 shown]
	v_fma_f32 v114, v114, 2.0, -v126
	v_fma_f32 v115, v115, 2.0, -v127
	;; [unrolled: 1-line block ×12, first 2 shown]
	s_barrier
	buffer_gl0_inv
	ds_write2_b64 v252, v[112:113], v[124:125] offset1:4
	ds_write2_b64 v251, v[114:115], v[126:127] offset1:4
	;; [unrolled: 1-line block ×7, first 2 shown]
	buffer_load_dword v100, off, s[16:19], 0 offset:80 ; 4-byte Folded Reload
	v_fmac_f32_e32 v206, v207, v138
	v_sub_f32_e32 v139, v103, v139
	v_sub_f32_e32 v140, v108, v147
	;; [unrolled: 1-line block ×5, first 2 shown]
	v_fma_f32 v103, v103, 2.0, -v139
	v_fma_f32 v108, v108, 2.0, -v140
	;; [unrolled: 1-line block ×3, first 2 shown]
	v_sub_f32_e32 v143, v111, v227
	v_fma_f32 v102, v102, 2.0, -v138
	v_sub_f32_e32 v144, v104, v226
	v_sub_f32_e32 v145, v105, v230
	v_fma_f32 v110, v110, 2.0, -v142
	v_fma_f32 v111, v111, 2.0, -v143
	v_fmac_f32_e32 v229, v207, v56
	v_fma_f32 v104, v104, 2.0, -v144
	v_fma_f32 v105, v105, 2.0, -v145
	v_sub_f32_e32 v146, v106, v228
	v_sub_f32_e32 v147, v107, v231
	v_sub_f32_e32 v56, v148, v229
	v_sub_f32_e32 v57, v149, v57
	v_fma_f32 v106, v106, 2.0, -v146
	v_fma_f32 v107, v107, 2.0, -v147
	s_waitcnt vmcnt(0)
	ds_write2_b64 v100, v[102:103], v[138:139] offset1:4
	buffer_load_dword v100, off, s[16:19], 0 offset:76 ; 4-byte Folded Reload
	s_waitcnt vmcnt(0)
	ds_write2_b64 v100, v[108:109], v[140:141] offset1:4
	buffer_load_dword v100, off, s[16:19], 0 offset:72 ; 4-byte Folded Reload
	s_waitcnt vmcnt(0)
	ds_write2_b64 v100, v[110:111], v[142:143] offset1:4
	ds_write2_b64 v233, v[104:105], v[144:145] offset1:4
	buffer_load_dword v100, off, s[16:19], 0 offset:68 ; 4-byte Folded Reload
	s_waitcnt vmcnt(0)
	ds_write2_b64 v100, v[106:107], v[146:147] offset1:4
	s_and_saveexec_b32 s1, vcc_lo
	s_cbranch_execz .LBB0_33
; %bb.32:
	buffer_load_dword v100, off, s[16:19], 0 ; 4-byte Folded Reload
	v_fma_f32 v101, v149, 2.0, -v57
	s_waitcnt vmcnt(0)
	v_and_or_b32 v102, 0x578, v100, v218
	v_fma_f32 v100, v148, 2.0, -v56
	v_lshlrev_b32_e32 v102, 3, v102
	ds_write2_b64 v102, v[100:101], v[56:57] offset1:4
.LBB0_33:
	s_or_b32 exec_lo, exec_lo, s1
	v_add_nc_u32_e32 v142, 0x400, v213
	v_add_nc_u32_e32 v116, 0x1000, v213
	;; [unrolled: 1-line block ×3, first 2 shown]
	s_waitcnt lgkmcnt(0)
	s_barrier
	buffer_gl0_inv
	ds_read2_b64 v[100:103], v142 offset0:96 offset1:152
	ds_read2_b64 v[112:115], v116 offset0:48 offset1:104
	;; [unrolled: 1-line block ×3, first 2 shown]
	ds_read2_b64 v[108:111], v213 offset1:56
	v_add_nc_u32_e32 v117, 0x2000, v213
	v_add_nc_u32_e32 v119, 0x800, v213
	;; [unrolled: 1-line block ×3, first 2 shown]
	ds_read2_b64 v[104:107], v213 offset0:112 offset1:168
	v_add_nc_u32_e32 v151, 0x1c00, v213
	ds_read2_b64 v[120:123], v117 offset0:96 offset1:152
	ds_read_b64 v[140:141], v213 offset:10752
	ds_read2_b64 v[128:131], v119 offset0:80 offset1:136
	ds_read2_b64 v[132:135], v118 offset0:128 offset1:184
	;; [unrolled: 1-line block ×6, first 2 shown]
	s_waitcnt lgkmcnt(0)
	s_barrier
	buffer_gl0_inv
	v_mul_f32_e32 v151, v5, v103
	v_mul_f32_e32 v212, v7, v113
	;; [unrolled: 1-line block ×6, first 2 shown]
	v_fmac_f32_e32 v212, v6, v112
	v_mul_f32_e32 v112, v3, v120
	v_fmac_f32_e32 v151, v4, v102
	v_fma_f32 v102, v4, v103, -v211
	v_fma_f32 v103, v6, v113, -v217
	;; [unrolled: 1-line block ×3, first 2 shown]
	v_mul_f32_e32 v217, v7, v115
	v_fma_f32 v226, v2, v121, -v112
	v_mul_f32_e32 v112, v7, v114
	v_mul_f32_e32 v113, v3, v121
	;; [unrolled: 1-line block ×3, first 2 shown]
	v_fmac_f32_e32 v217, v6, v114
	v_mul_f32_e32 v114, v1, v132
	v_fma_f32 v230, v6, v115, -v112
	v_mul_f32_e32 v112, v5, v130
	v_fmac_f32_e32 v113, v2, v120
	v_mul_f32_e32 v120, v3, v122
	v_fma_f32 v231, v0, v133, -v114
	v_mul_f32_e32 v114, v7, v136
	v_fma_f32 v237, v4, v131, -v112
	v_mul_f32_e32 v112, v1, v134
	v_fmac_f32_e32 v218, v0, v126
	v_mul_f32_e32 v211, v5, v129
	v_mul_f32_e32 v126, v5, v128
	v_fmac_f32_e32 v229, v2, v122
	v_fma_f32 v232, v2, v123, -v120
	v_mul_f32_e32 v233, v5, v131
	v_mul_f32_e32 v235, v7, v137
	v_fma_f32 v238, v6, v137, -v114
	v_mul_f32_e32 v114, v3, v143
	v_mul_f32_e32 v240, v5, v148
	;; [unrolled: 1-line block ×3, first 2 shown]
	v_fma_f32 v241, v0, v135, -v112
	v_mul_f32_e32 v244, v7, v139
	v_mul_f32_e32 v112, v7, v138
	;; [unrolled: 1-line block ×6, first 2 shown]
	v_fmac_f32_e32 v211, v4, v128
	v_fma_f32 v227, v4, v129, -v126
	v_mul_f32_e32 v228, v1, v133
	v_mul_f32_e32 v236, v1, v135
	v_fmac_f32_e32 v233, v4, v130
	v_fma_f32 v242, v2, v144, -v114
	v_fmac_f32_e32 v240, v4, v147
	v_fma_f32 v243, v4, v148, -v115
	v_mul_f32_e32 v245, v1, v206
	v_mul_f32_e32 v114, v1, v205
	v_fmac_f32_e32 v123, v4, v149
	v_fma_f32 v120, v4, v150, -v5
	v_fma_f32 v121, v6, v125, -v7
	v_add_f32_e32 v4, v212, v218
	v_mul_f32_e32 v125, v1, v208
	v_mul_f32_e32 v1, v1, v207
	v_add_f32_e32 v5, v108, v151
	v_fmac_f32_e32 v228, v0, v132
	v_fmac_f32_e32 v236, v0, v134
	v_mul_f32_e32 v239, v3, v144
	v_mul_f32_e32 v148, v3, v146
	v_fma_f32 v246, v6, v139, -v112
	v_fmac_f32_e32 v245, v0, v205
	v_fma_f32 v247, v0, v206, -v114
	v_mul_f32_e32 v112, v3, v145
	v_fmac_f32_e32 v122, v6, v124
	v_mul_f32_e32 v249, v3, v141
	v_fma_f32 v4, -0.5, v4, v108
	v_sub_f32_e32 v7, v102, v226
	v_fmac_f32_e32 v125, v0, v207
	v_fma_f32 v124, v0, v208, -v1
	v_add_f32_e32 v0, v5, v212
	v_add_f32_e32 v114, v151, v113
	v_mul_f32_e32 v3, v3, v140
	v_fmac_f32_e32 v235, v6, v136
	v_fmac_f32_e32 v244, v6, v138
	v_fma_f32 v248, v2, v146, -v112
	v_fmamk_f32 v6, v7, 0xbf737871, v4
	v_sub_f32_e32 v1, v103, v127
	v_sub_f32_e32 v5, v151, v212
	;; [unrolled: 1-line block ×3, first 2 shown]
	v_add_f32_e32 v0, v0, v218
	v_fma_f32 v108, -0.5, v114, v108
	v_fma_f32 v126, v2, v141, -v3
	v_fmac_f32_e32 v4, 0x3f737871, v7
	v_add_f32_e32 v3, v109, v102
	v_fmac_f32_e32 v239, v2, v143
	v_fmac_f32_e32 v148, v2, v145
	;; [unrolled: 1-line block ×4, first 2 shown]
	v_add_f32_e32 v115, v5, v112
	v_add_f32_e32 v114, v0, v113
	v_fmamk_f32 v112, v1, 0x3f737871, v108
	v_sub_f32_e32 v0, v212, v151
	v_sub_f32_e32 v2, v218, v113
	v_fmac_f32_e32 v4, 0x3f167918, v1
	v_add_f32_e32 v5, v103, v127
	v_fmac_f32_e32 v108, 0xbf737871, v1
	v_add_f32_e32 v1, v3, v103
	v_add_f32_e32 v0, v0, v2
	v_sub_f32_e32 v2, v151, v113
	v_fma_f32 v5, -0.5, v5, v109
	v_add_f32_e32 v3, v102, v226
	v_add_f32_e32 v1, v1, v127
	v_fmac_f32_e32 v6, 0x3e9e377a, v115
	v_fmac_f32_e32 v112, 0xbf167918, v7
	;; [unrolled: 1-line block ×4, first 2 shown]
	v_fmamk_f32 v7, v2, 0x3f737871, v5
	v_sub_f32_e32 v128, v212, v218
	v_sub_f32_e32 v113, v102, v103
	v_sub_f32_e32 v129, v226, v127
	v_fma_f32 v109, -0.5, v3, v109
	v_add_f32_e32 v115, v1, v226
	v_fmac_f32_e32 v5, 0xbf737871, v2
	v_sub_f32_e32 v1, v103, v102
	v_sub_f32_e32 v3, v127, v226
	v_fmac_f32_e32 v112, 0x3e9e377a, v0
	v_fmac_f32_e32 v108, 0x3e9e377a, v0
	;; [unrolled: 1-line block ×3, first 2 shown]
	v_add_f32_e32 v0, v113, v129
	v_fmac_f32_e32 v5, 0xbf167918, v128
	v_add_f32_e32 v1, v1, v3
	v_add_f32_e32 v3, v110, v211
	v_fmamk_f32 v113, v128, 0xbf737871, v109
	v_fmac_f32_e32 v7, 0x3e9e377a, v0
	v_add_f32_e32 v102, v217, v228
	v_fmac_f32_e32 v5, 0x3e9e377a, v0
	v_fmac_f32_e32 v109, 0x3f737871, v128
	v_add_f32_e32 v0, v3, v217
	v_fmac_f32_e32 v113, 0x3f167918, v2
	v_fma_f32 v127, -0.5, v102, v110
	v_sub_f32_e32 v102, v227, v232
	v_sub_f32_e32 v103, v211, v217
	;; [unrolled: 1-line block ×3, first 2 shown]
	v_fmac_f32_e32 v109, 0xbf167918, v2
	v_add_f32_e32 v0, v0, v228
	v_fmac_f32_e32 v113, 0x3e9e377a, v1
	v_fmamk_f32 v129, v102, 0xbf737871, v127
	v_sub_f32_e32 v3, v230, v231
	v_add_f32_e32 v130, v211, v229
	v_add_f32_e32 v2, v103, v128
	v_fmac_f32_e32 v109, 0x3e9e377a, v1
	v_add_f32_e32 v131, v0, v229
	v_fmac_f32_e32 v127, 0x3f737871, v102
	v_sub_f32_e32 v0, v217, v211
	v_sub_f32_e32 v1, v228, v229
	v_add_f32_e32 v103, v111, v227
	v_fmac_f32_e32 v129, 0xbf167918, v3
	v_fma_f32 v110, -0.5, v130, v110
	v_fmac_f32_e32 v127, 0x3f167918, v3
	v_add_f32_e32 v128, v230, v231
	v_add_f32_e32 v0, v0, v1
	v_add_f32_e32 v1, v103, v230
	v_fmac_f32_e32 v129, 0x3e9e377a, v2
	v_fmamk_f32 v133, v3, 0x3f737871, v110
	v_fmac_f32_e32 v110, 0xbf737871, v3
	v_fma_f32 v128, -0.5, v128, v111
	v_sub_f32_e32 v3, v211, v229
	v_fmac_f32_e32 v127, 0x3e9e377a, v2
	v_add_f32_e32 v1, v1, v231
	v_add_f32_e32 v2, v227, v232
	v_fmac_f32_e32 v133, 0xbf167918, v102
	v_fmac_f32_e32 v110, 0x3f167918, v102
	v_fmamk_f32 v130, v3, 0x3f737871, v128
	v_sub_f32_e32 v102, v217, v228
	v_sub_f32_e32 v103, v227, v230
	;; [unrolled: 1-line block ×3, first 2 shown]
	v_fmac_f32_e32 v111, -0.5, v2
	v_add_f32_e32 v132, v1, v232
	v_fmac_f32_e32 v128, 0xbf737871, v3
	v_sub_f32_e32 v1, v230, v227
	v_sub_f32_e32 v2, v231, v232
	v_fmac_f32_e32 v133, 0x3e9e377a, v0
	v_fmac_f32_e32 v110, 0x3e9e377a, v0
	;; [unrolled: 1-line block ×3, first 2 shown]
	v_add_f32_e32 v0, v103, v134
	v_fmac_f32_e32 v128, 0xbf167918, v102
	v_add_f32_e32 v1, v1, v2
	v_add_f32_e32 v2, v104, v233
	v_fmamk_f32 v134, v102, 0xbf737871, v111
	v_fmac_f32_e32 v130, 0x3e9e377a, v0
	v_add_f32_e32 v103, v235, v236
	v_fmac_f32_e32 v128, 0x3e9e377a, v0
	v_fmac_f32_e32 v111, 0x3f737871, v102
	v_add_f32_e32 v0, v2, v235
	v_fmac_f32_e32 v134, 0x3f167918, v3
	v_fma_f32 v135, -0.5, v103, v104
	v_sub_f32_e32 v103, v237, v242
	v_sub_f32_e32 v102, v233, v235
	;; [unrolled: 1-line block ×3, first 2 shown]
	v_fmac_f32_e32 v111, 0xbf167918, v3
	v_add_f32_e32 v0, v0, v236
	v_fmac_f32_e32 v134, 0x3e9e377a, v1
	v_fmamk_f32 v137, v103, 0xbf737871, v135
	v_sub_f32_e32 v2, v238, v241
	v_add_f32_e32 v138, v233, v239
	v_add_f32_e32 v3, v102, v136
	v_fmac_f32_e32 v111, 0x3e9e377a, v1
	v_add_f32_e32 v139, v0, v239
	v_fmac_f32_e32 v135, 0x3f737871, v103
	v_sub_f32_e32 v0, v235, v233
	v_sub_f32_e32 v1, v236, v239
	v_add_f32_e32 v102, v105, v237
	v_fmac_f32_e32 v137, 0xbf167918, v2
	v_fma_f32 v104, -0.5, v138, v104
	v_fmac_f32_e32 v135, 0x3f167918, v2
	v_add_f32_e32 v136, v238, v241
	v_add_f32_e32 v0, v0, v1
	;; [unrolled: 1-line block ×3, first 2 shown]
	v_fmac_f32_e32 v137, 0x3e9e377a, v3
	v_fmamk_f32 v143, v2, 0x3f737871, v104
	v_fmac_f32_e32 v104, 0xbf737871, v2
	v_fma_f32 v136, -0.5, v136, v105
	v_sub_f32_e32 v2, v233, v239
	v_fmac_f32_e32 v135, 0x3e9e377a, v3
	v_add_f32_e32 v1, v1, v241
	v_add_f32_e32 v3, v237, v242
	v_fmac_f32_e32 v143, 0xbf167918, v103
	v_fmac_f32_e32 v104, 0x3f167918, v103
	v_fmamk_f32 v138, v2, 0x3f737871, v136
	v_sub_f32_e32 v102, v235, v236
	v_sub_f32_e32 v103, v237, v238
	;; [unrolled: 1-line block ×3, first 2 shown]
	v_fma_f32 v105, -0.5, v3, v105
	v_add_f32_e32 v140, v1, v242
	v_fmac_f32_e32 v136, 0xbf737871, v2
	v_sub_f32_e32 v1, v238, v237
	v_sub_f32_e32 v3, v241, v242
	v_fmac_f32_e32 v143, 0x3e9e377a, v0
	v_fmac_f32_e32 v104, 0x3e9e377a, v0
	;; [unrolled: 1-line block ×3, first 2 shown]
	v_add_f32_e32 v0, v103, v141
	v_fmac_f32_e32 v136, 0xbf167918, v102
	v_add_f32_e32 v1, v1, v3
	v_add_f32_e32 v3, v106, v240
	v_fmamk_f32 v144, v102, 0xbf737871, v105
	v_fmac_f32_e32 v138, 0x3e9e377a, v0
	v_add_f32_e32 v103, v244, v245
	v_fmac_f32_e32 v136, 0x3e9e377a, v0
	v_fmac_f32_e32 v105, 0x3f737871, v102
	v_add_f32_e32 v0, v3, v244
	v_fmac_f32_e32 v144, 0x3f167918, v2
	v_fma_f32 v145, -0.5, v103, v106
	v_sub_f32_e32 v103, v243, v248
	v_sub_f32_e32 v102, v240, v244
	;; [unrolled: 1-line block ×3, first 2 shown]
	v_fmac_f32_e32 v105, 0xbf167918, v2
	v_add_f32_e32 v0, v0, v245
	v_fmac_f32_e32 v144, 0x3e9e377a, v1
	v_fmamk_f32 v147, v103, 0xbf737871, v145
	v_sub_f32_e32 v3, v246, v247
	v_add_f32_e32 v2, v102, v141
	v_fmac_f32_e32 v105, 0x3e9e377a, v1
	v_add_f32_e32 v149, v0, v148
	v_fmac_f32_e32 v145, 0x3f737871, v103
	v_sub_f32_e32 v0, v244, v240
	v_sub_f32_e32 v1, v245, v148
	v_add_f32_e32 v102, v107, v243
	v_add_f32_e32 v146, v240, v148
	v_fmac_f32_e32 v147, 0xbf167918, v3
	v_fmac_f32_e32 v145, 0x3f167918, v3
	v_add_f32_e32 v0, v0, v1
	v_add_f32_e32 v1, v102, v246
	v_fma_f32 v106, -0.5, v146, v106
	v_fmac_f32_e32 v147, 0x3e9e377a, v2
	v_add_f32_e32 v141, v246, v247
	v_fmac_f32_e32 v145, 0x3e9e377a, v2
	v_add_f32_e32 v1, v1, v247
	v_add_f32_e32 v2, v243, v248
	v_fmamk_f32 v205, v3, 0x3f737871, v106
	v_fmac_f32_e32 v106, 0xbf737871, v3
	v_fma_f32 v146, -0.5, v141, v107
	v_add_f32_e32 v150, v1, v248
	v_fmac_f32_e32 v107, -0.5, v2
	v_sub_f32_e32 v1, v246, v243
	v_sub_f32_e32 v2, v247, v248
	v_fmac_f32_e32 v205, 0xbf167918, v103
	v_sub_f32_e32 v3, v240, v148
	v_fmac_f32_e32 v106, 0x3f167918, v103
	v_sub_f32_e32 v102, v244, v245
	v_sub_f32_e32 v103, v243, v246
	;; [unrolled: 1-line block ×3, first 2 shown]
	v_add_f32_e32 v1, v1, v2
	v_add_f32_e32 v2, v100, v123
	v_fmac_f32_e32 v205, 0x3e9e377a, v0
	v_fmamk_f32 v148, v3, 0x3f737871, v146
	v_fmac_f32_e32 v106, 0x3e9e377a, v0
	v_add_f32_e32 v0, v103, v141
	v_fmac_f32_e32 v146, 0xbf737871, v3
	v_fmamk_f32 v206, v102, 0xbf737871, v107
	v_add_f32_e32 v103, v122, v125
	v_fmac_f32_e32 v107, 0x3f737871, v102
	v_add_f32_e32 v2, v2, v122
	v_add_f32_e32 v207, v123, v249
	v_fmac_f32_e32 v148, 0x3f167918, v102
	v_fmac_f32_e32 v146, 0xbf167918, v102
	;; [unrolled: 1-line block ×3, first 2 shown]
	v_fma_f32 v102, -0.5, v103, v100
	v_sub_f32_e32 v141, v120, v126
	v_fmac_f32_e32 v107, 0xbf167918, v3
	v_sub_f32_e32 v3, v121, v124
	v_add_f32_e32 v2, v2, v125
	v_fma_f32 v100, -0.5, v207, v100
	v_fmac_f32_e32 v148, 0x3e9e377a, v0
	v_fmac_f32_e32 v146, 0x3e9e377a, v0
	v_fmamk_f32 v0, v141, 0xbf737871, v102
	v_sub_f32_e32 v103, v123, v122
	v_sub_f32_e32 v151, v249, v125
	v_fmac_f32_e32 v102, 0x3f737871, v141
	v_add_f32_e32 v207, v2, v249
	v_fmamk_f32 v2, v3, 0x3f737871, v100
	v_fmac_f32_e32 v100, 0xbf737871, v3
	v_fmac_f32_e32 v206, 0x3e9e377a, v1
	;; [unrolled: 1-line block ×3, first 2 shown]
	v_add_f32_e32 v103, v103, v151
	v_fmac_f32_e32 v102, 0x3f167918, v3
	v_fmac_f32_e32 v107, 0x3e9e377a, v1
	v_add_f32_e32 v1, v121, v124
	v_sub_f32_e32 v151, v122, v123
	v_sub_f32_e32 v208, v125, v249
	v_add_f32_e32 v3, v101, v120
	v_fmac_f32_e32 v2, 0xbf167918, v141
	v_fmac_f32_e32 v100, 0x3f167918, v141
	v_add_f32_e32 v141, v120, v126
	v_fmac_f32_e32 v0, 0x3e9e377a, v103
	v_fmac_f32_e32 v102, 0x3e9e377a, v103
	v_fma_f32 v103, -0.5, v1, v101
	v_sub_f32_e32 v123, v123, v249
	v_add_f32_e32 v151, v151, v208
	v_add_f32_e32 v3, v3, v121
	v_sub_f32_e32 v122, v122, v125
	v_fmac_f32_e32 v101, -0.5, v141
	v_fmamk_f32 v1, v123, 0x3f737871, v103
	v_fmac_f32_e32 v2, 0x3e9e377a, v151
	v_fmac_f32_e32 v100, 0x3e9e377a, v151
	v_add_f32_e32 v125, v3, v124
	v_sub_f32_e32 v141, v120, v121
	v_sub_f32_e32 v151, v126, v124
	v_fmac_f32_e32 v103, 0xbf737871, v123
	v_fmamk_f32 v3, v122, 0xbf737871, v101
	v_sub_f32_e32 v120, v121, v120
	v_sub_f32_e32 v121, v124, v126
	v_fmac_f32_e32 v101, 0x3f737871, v122
	v_fmac_f32_e32 v1, 0x3f167918, v122
	v_add_f32_e32 v124, v141, v151
	v_fmac_f32_e32 v103, 0xbf167918, v122
	v_fmac_f32_e32 v3, 0x3f167918, v123
	v_add_f32_e32 v120, v120, v121
	v_fmac_f32_e32 v101, 0xbf167918, v123
	v_add_f32_e32 v208, v125, v126
	v_fmac_f32_e32 v1, 0x3e9e377a, v124
	v_fmac_f32_e32 v103, 0x3e9e377a, v124
	;; [unrolled: 1-line block ×4, first 2 shown]
	ds_write2_b64 v223, v[114:115], v[6:7] offset1:8
	ds_write2_b64 v223, v[112:113], v[108:109] offset0:16 offset1:24
	ds_write_b64 v223, v[4:5] offset:256
	ds_write2_b64 v221, v[131:132], v[129:130] offset1:8
	ds_write2_b64 v221, v[133:134], v[110:111] offset0:16 offset1:24
	ds_write_b64 v221, v[127:128] offset:256
	;; [unrolled: 3-line block ×5, first 2 shown]
	s_waitcnt lgkmcnt(0)
	s_barrier
	buffer_gl0_inv
	ds_read2_b64 v[104:107], v213 offset1:56
	ds_read2_b64 v[4:7], v213 offset0:112 offset1:200
	ds_read2_b64 v[136:139], v119 offset0:144 offset1:200
	ds_read2_b64 v[112:115], v116 offset1:88
	ds_read2_b64 v[132:135], v118 offset0:32 offset1:88
	ds_read2_b64 v[108:111], v118 offset0:144 offset1:232
	;; [unrolled: 1-line block ×3, first 2 shown]
	ds_read2_b64 v[128:131], v119 offset1:56
	ds_read2_b64 v[120:123], v116 offset0:144 offset1:200
	ds_read2_b64 v[116:119], v117 offset0:32 offset1:88
	ds_read_b64 v[140:141], v213 offset:10496
	s_and_saveexec_b32 s1, s0
	s_cbranch_execz .LBB0_35
; %bb.34:
	v_add_nc_u32_e32 v56, 0x1100, v213
	v_add_nc_u32_e32 v57, 0x1e00, v213
	ds_read2_b64 v[0:3], v142 offset0:40 offset1:240
	ds_read2_b64 v[100:103], v56 offset0:24 offset1:224
	;; [unrolled: 1-line block ×3, first 2 shown]
	ds_read_b64 v[209:210], v213 offset:10944
.LBB0_35:
	s_or_b32 exec_lo, exec_lo, s1
	s_waitcnt lgkmcnt(9)
	v_mul_f32_e32 v142, v21, v7
	v_mul_f32_e32 v21, v21, v6
	s_waitcnt lgkmcnt(8)
	v_mul_f32_e32 v143, v23, v137
	v_mul_f32_e32 v23, v23, v136
	s_waitcnt lgkmcnt(7)
	v_mul_f32_e32 v144, v37, v115
	v_fmac_f32_e32 v142, v20, v6
	v_mul_f32_e32 v6, v37, v114
	v_fma_f32 v7, v20, v7, -v21
	v_fmac_f32_e32 v143, v22, v136
	v_fma_f32 v20, v22, v137, -v23
	s_waitcnt lgkmcnt(6)
	v_mul_f32_e32 v21, v39, v133
	v_mul_f32_e32 v22, v39, v132
	s_waitcnt lgkmcnt(3)
	v_mul_f32_e32 v39, v25, v129
	v_mul_f32_e32 v25, v25, v128
	v_fmac_f32_e32 v144, v36, v114
	v_fma_f32 v6, v36, v115, -v6
	v_mul_f32_e32 v23, v41, v111
	v_mul_f32_e32 v36, v41, v110
	v_fmac_f32_e32 v39, v24, v128
	v_fma_f32 v41, v24, v129, -v25
	s_waitcnt lgkmcnt(2)
	v_mul_f32_e32 v24, v29, v120
	v_mul_f32_e32 v25, v31, v134
	;; [unrolled: 1-line block ×3, first 2 shown]
	v_fmac_f32_e32 v21, v38, v132
	v_fma_f32 v22, v38, v133, -v22
	v_fma_f32 v36, v40, v111, -v36
	v_mul_f32_e32 v38, v43, v124
	v_mul_f32_e32 v43, v29, v121
	s_waitcnt lgkmcnt(1)
	v_mul_f32_e32 v111, v33, v117
	v_fma_f32 v114, v28, v121, -v24
	v_fma_f32 v115, v30, v135, -v25
	v_mul_f32_e32 v24, v33, v116
	v_mul_f32_e32 v33, v35, v127
	v_mul_f32_e32 v25, v35, v126
	v_fmac_f32_e32 v43, v28, v120
	v_fmac_f32_e32 v111, v32, v116
	v_fma_f32 v32, v32, v117, -v24
	v_fmac_f32_e32 v33, v34, v126
	v_fma_f32 v34, v34, v127, -v25
	v_mul_f32_e32 v120, v47, v113
	v_mul_f32_e32 v24, v47, v112
	;; [unrolled: 1-line block ×4, first 2 shown]
	v_fmac_f32_e32 v23, v40, v110
	v_fmac_f32_e32 v37, v42, v124
	v_mul_f32_e32 v40, v27, v139
	v_mul_f32_e32 v27, v27, v138
	v_fma_f32 v38, v42, v125, -v38
	v_mul_f32_e32 v49, v51, v109
	v_fmac_f32_e32 v120, v46, v112
	v_fma_f32 v46, v46, v113, -v24
	v_fmac_f32_e32 v47, v48, v122
	v_fma_f32 v48, v48, v123, -v25
	v_mul_f32_e32 v24, v51, v108
	v_mul_f32_e32 v51, v53, v119
	;; [unrolled: 1-line block ×3, first 2 shown]
	v_fmac_f32_e32 v40, v26, v138
	v_fma_f32 v42, v26, v139, -v27
	v_mul_f32_e32 v110, v31, v135
	v_mul_f32_e32 v26, v45, v130
	v_fmac_f32_e32 v49, v50, v108
	v_fma_f32 v50, v50, v109, -v24
	v_fmac_f32_e32 v51, v52, v118
	v_fma_f32 v52, v52, v119, -v25
	v_add_f32_e32 v24, v142, v37
	v_add_f32_e32 v25, v7, v38
	;; [unrolled: 1-line block ×4, first 2 shown]
	v_fmac_f32_e32 v110, v30, v134
	v_mul_f32_e32 v116, v45, v131
	v_fma_f32 v117, v44, v131, -v26
	s_waitcnt lgkmcnt(0)
	v_mul_f32_e32 v53, v55, v141
	v_mul_f32_e32 v26, v55, v140
	v_sub_f32_e32 v7, v7, v38
	v_sub_f32_e32 v23, v143, v23
	;; [unrolled: 1-line block ×3, first 2 shown]
	v_add_f32_e32 v29, v144, v21
	v_add_f32_e32 v30, v6, v22
	v_sub_f32_e32 v21, v21, v144
	v_sub_f32_e32 v6, v22, v6
	v_add_f32_e32 v22, v27, v24
	v_add_f32_e32 v31, v28, v25
	v_fmac_f32_e32 v116, v44, v130
	v_fmac_f32_e32 v53, v54, v140
	v_fma_f32 v54, v54, v141, -v26
	v_sub_f32_e32 v26, v142, v37
	v_sub_f32_e32 v35, v27, v24
	;; [unrolled: 1-line block ×7, first 2 shown]
	v_add_f32_e32 v37, v21, v23
	v_add_f32_e32 v38, v6, v20
	v_sub_f32_e32 v44, v21, v23
	v_sub_f32_e32 v45, v6, v20
	v_add_f32_e32 v22, v29, v22
	v_add_f32_e32 v29, v30, v31
	v_sub_f32_e32 v20, v20, v7
	v_sub_f32_e32 v21, v26, v21
	v_sub_f32_e32 v55, v7, v6
	v_sub_f32_e32 v23, v23, v26
	v_add_f32_e32 v26, v37, v26
	v_add_f32_e32 v30, v38, v7
	;; [unrolled: 1-line block ×4, first 2 shown]
	v_mul_f32_e32 v24, 0x3f4a47b2, v24
	v_mul_f32_e32 v25, 0x3f4a47b2, v25
	;; [unrolled: 1-line block ×8, first 2 shown]
	v_fmamk_f32 v22, v22, 0xbf955555, v6
	v_fmamk_f32 v29, v29, 0xbf955555, v7
	;; [unrolled: 1-line block ×4, first 2 shown]
	v_fma_f32 v31, 0x3f3bfb3b, v35, -v31
	v_fma_f32 v37, 0x3f3bfb3b, v36, -v37
	;; [unrolled: 1-line block ×4, first 2 shown]
	v_fmamk_f32 v35, v21, 0xbeae86e6, v38
	v_fmamk_f32 v36, v55, 0xbeae86e6, v44
	v_fma_f32 v38, 0xbf5ff5aa, v23, -v38
	v_fma_f32 v44, 0xbf5ff5aa, v20, -v44
	;; [unrolled: 1-line block ×4, first 2 shown]
	v_add_f32_e32 v104, v27, v22
	v_add_f32_e32 v105, v28, v29
	v_add_f32_e32 v27, v31, v22
	v_add_f32_e32 v28, v37, v29
	v_add_f32_e32 v31, v24, v22
	v_fmac_f32_e32 v35, 0xbee1c552, v26
	v_fmac_f32_e32 v36, 0xbee1c552, v30
	;; [unrolled: 1-line block ×5, first 2 shown]
	v_add_f32_e32 v29, v25, v29
	v_fmac_f32_e32 v45, 0xbee1c552, v26
	v_add_f32_e32 v20, v36, v104
	v_sub_f32_e32 v21, v105, v35
	v_add_f32_e32 v22, v55, v31
	v_sub_f32_e32 v24, v27, v44
	v_add_f32_e32 v25, v38, v28
	v_add_f32_e32 v26, v44, v27
	v_sub_f32_e32 v27, v28, v38
	v_sub_f32_e32 v28, v31, v55
	;; [unrolled: 1-line block ×3, first 2 shown]
	v_add_f32_e32 v31, v35, v105
	v_add_f32_e32 v35, v39, v33
	;; [unrolled: 1-line block ×5, first 2 shown]
	v_sub_f32_e32 v23, v29, v45
	v_add_f32_e32 v29, v45, v29
	v_sub_f32_e32 v33, v39, v33
	v_sub_f32_e32 v34, v41, v34
	v_sub_f32_e32 v39, v40, v111
	v_sub_f32_e32 v32, v42, v32
	v_add_f32_e32 v40, v43, v110
	v_add_f32_e32 v41, v114, v115
	v_sub_f32_e32 v42, v110, v43
	v_sub_f32_e32 v43, v115, v114
	v_add_f32_e32 v44, v37, v35
	v_add_f32_e32 v45, v38, v36
	v_sub_f32_e32 v55, v37, v35
	v_sub_f32_e32 v104, v38, v36
	;; [unrolled: 1-line block ×6, first 2 shown]
	v_add_f32_e32 v105, v42, v39
	v_add_f32_e32 v108, v43, v32
	v_sub_f32_e32 v109, v42, v39
	v_sub_f32_e32 v110, v43, v32
	;; [unrolled: 1-line block ×3, first 2 shown]
	v_add_f32_e32 v40, v40, v44
	v_add_f32_e32 v41, v41, v45
	v_sub_f32_e32 v44, v32, v34
	v_sub_f32_e32 v42, v33, v42
	;; [unrolled: 1-line block ×3, first 2 shown]
	v_add_f32_e32 v45, v105, v33
	v_add_f32_e32 v34, v108, v34
	;; [unrolled: 1-line block ×4, first 2 shown]
	v_mul_f32_e32 v35, 0x3f4a47b2, v35
	v_mul_f32_e32 v36, 0x3f4a47b2, v36
	;; [unrolled: 1-line block ×8, first 2 shown]
	v_fmamk_f32 v40, v40, 0xbf955555, v32
	v_fmamk_f32 v41, v41, 0xbf955555, v33
	;; [unrolled: 1-line block ×4, first 2 shown]
	v_fma_f32 v105, 0x3f3bfb3b, v55, -v105
	v_fma_f32 v106, 0x3f3bfb3b, v104, -v106
	;; [unrolled: 1-line block ×4, first 2 shown]
	v_fmamk_f32 v55, v42, 0xbeae86e6, v107
	v_fmamk_f32 v104, v43, 0xbeae86e6, v108
	v_fma_f32 v107, 0xbf5ff5aa, v39, -v107
	v_fma_f32 v44, 0xbf5ff5aa, v44, -v108
	;; [unrolled: 1-line block ×4, first 2 shown]
	v_add_f32_e32 v109, v37, v40
	v_add_f32_e32 v110, v38, v41
	;; [unrolled: 1-line block ×5, first 2 shown]
	v_fmac_f32_e32 v55, 0xbee1c552, v45
	v_fmac_f32_e32 v104, 0xbee1c552, v34
	;; [unrolled: 1-line block ×5, first 2 shown]
	v_add_f32_e32 v111, v36, v41
	v_fmac_f32_e32 v108, 0xbee1c552, v45
	v_add_f32_e32 v34, v104, v109
	v_sub_f32_e32 v35, v110, v55
	v_add_f32_e32 v36, v42, v106
	v_sub_f32_e32 v38, v43, v44
	v_add_f32_e32 v39, v107, v105
	v_add_f32_e32 v40, v44, v43
	v_sub_f32_e32 v41, v105, v107
	v_sub_f32_e32 v42, v106, v42
	;; [unrolled: 1-line block ×3, first 2 shown]
	v_add_f32_e32 v45, v55, v110
	v_add_f32_e32 v55, v116, v53
	;; [unrolled: 1-line block ×5, first 2 shown]
	v_sub_f32_e32 v53, v116, v53
	v_sub_f32_e32 v54, v117, v54
	;; [unrolled: 1-line block ×4, first 2 shown]
	v_add_f32_e32 v52, v47, v49
	v_add_f32_e32 v107, v48, v50
	v_sub_f32_e32 v47, v49, v47
	v_sub_f32_e32 v48, v50, v48
	v_add_f32_e32 v49, v105, v55
	v_add_f32_e32 v50, v106, v104
	v_sub_f32_e32 v37, v111, v108
	v_add_f32_e32 v43, v108, v111
	v_sub_f32_e32 v108, v105, v55
	v_sub_f32_e32 v109, v106, v104
	;; [unrolled: 1-line block ×6, first 2 shown]
	v_add_f32_e32 v110, v47, v51
	v_add_f32_e32 v111, v48, v46
	v_sub_f32_e32 v112, v47, v51
	v_sub_f32_e32 v113, v48, v46
	;; [unrolled: 1-line block ×3, first 2 shown]
	v_add_f32_e32 v49, v52, v49
	v_add_f32_e32 v50, v107, v50
	v_sub_f32_e32 v46, v46, v54
	v_sub_f32_e32 v47, v53, v47
	;; [unrolled: 1-line block ×3, first 2 shown]
	v_add_f32_e32 v52, v110, v53
	v_add_f32_e32 v53, v111, v54
	;; [unrolled: 1-line block ×4, first 2 shown]
	v_mul_f32_e32 v54, 0x3f4a47b2, v55
	v_mul_f32_e32 v55, 0x3f4a47b2, v104
	;; [unrolled: 1-line block ×8, first 2 shown]
	v_fmamk_f32 v49, v49, 0xbf955555, v4
	v_fmamk_f32 v50, v50, 0xbf955555, v5
	;; [unrolled: 1-line block ×4, first 2 shown]
	v_fma_f32 v104, 0x3f3bfb3b, v108, -v104
	v_fma_f32 v107, 0x3f3bfb3b, v109, -v107
	;; [unrolled: 1-line block ×4, first 2 shown]
	v_fmamk_f32 v108, v47, 0xbeae86e6, v110
	v_fmamk_f32 v109, v48, 0xbeae86e6, v111
	v_fma_f32 v110, 0xbf5ff5aa, v51, -v110
	v_fma_f32 v111, 0xbf5ff5aa, v46, -v111
	;; [unrolled: 1-line block ×4, first 2 shown]
	v_add_f32_e32 v105, v105, v49
	v_add_f32_e32 v106, v106, v50
	;; [unrolled: 1-line block ×6, first 2 shown]
	v_fmac_f32_e32 v108, 0xbee1c552, v52
	v_fmac_f32_e32 v109, 0xbee1c552, v53
	;; [unrolled: 1-line block ×6, first 2 shown]
	v_add_f32_e32 v46, v109, v105
	v_sub_f32_e32 v47, v106, v108
	v_add_f32_e32 v48, v113, v54
	v_sub_f32_e32 v49, v55, v112
	v_sub_f32_e32 v50, v104, v111
	v_add_f32_e32 v51, v110, v107
	v_add_f32_e32 v52, v111, v104
	v_sub_f32_e32 v53, v107, v110
	v_sub_f32_e32 v54, v54, v113
	v_add_f32_e32 v55, v112, v55
	v_sub_f32_e32 v104, v105, v109
	v_add_f32_e32 v105, v108, v106
	s_barrier
	buffer_gl0_inv
	ds_write2_b64 v222, v[6:7], v[20:21] offset1:40
	ds_write2_b64 v222, v[22:23], v[24:25] offset0:80 offset1:120
	ds_write2_b64 v222, v[26:27], v[28:29] offset0:160 offset1:200
	ds_write_b64 v222, v[30:31] offset:1920
	ds_write2_b64 v224, v[32:33], v[34:35] offset1:40
	ds_write2_b64 v224, v[36:37], v[38:39] offset0:80 offset1:120
	ds_write2_b64 v224, v[40:41], v[42:43] offset0:160 offset1:200
	ds_write_b64 v224, v[44:45] offset:1920
	;; [unrolled: 4-line block ×3, first 2 shown]
	s_and_saveexec_b32 s1, s0
	s_cbranch_execz .LBB0_37
; %bb.36:
	v_mul_f32_e32 v4, v9, v3
	v_mul_f32_e32 v5, v15, v57
	;; [unrolled: 1-line block ×5, first 2 shown]
	v_fmac_f32_e32 v4, v8, v2
	v_mul_f32_e32 v2, v9, v2
	v_mul_f32_e32 v21, v19, v210
	;; [unrolled: 1-line block ×3, first 2 shown]
	v_fmac_f32_e32 v5, v14, v56
	v_fmac_f32_e32 v6, v12, v102
	v_fma_f32 v2, v8, v3, -v2
	v_mul_f32_e32 v3, v13, v102
	v_mul_f32_e32 v8, v15, v56
	v_fmac_f32_e32 v7, v10, v100
	v_fmac_f32_e32 v20, v16, v58
	v_fmac_f32_e32 v21, v18, v209
	v_fma_f32 v9, v18, v210, -v19
	v_mul_f32_e32 v17, v17, v58
	v_fma_f32 v3, v12, v103, -v3
	v_fma_f32 v8, v14, v57, -v8
	v_sub_f32_e32 v22, v5, v6
	v_sub_f32_e32 v23, v7, v20
	;; [unrolled: 1-line block ×3, first 2 shown]
	v_mul_f32_e32 v11, v11, v100
	v_fma_f32 v13, v16, v59, -v17
	v_add_f32_e32 v15, v9, v2
	v_add_f32_e32 v16, v8, v3
	v_add_f32_e32 v4, v21, v4
	v_add_f32_e32 v7, v20, v7
	v_sub_f32_e32 v25, v22, v23
	v_sub_f32_e32 v18, v24, v22
	v_fma_f32 v10, v10, v101, -v11
	v_add_f32_e32 v11, v22, v23
	v_sub_f32_e32 v22, v15, v16
	v_add_f32_e32 v5, v5, v6
	v_add_f32_e32 v6, v7, v4
	;; [unrolled: 1-line block ×3, first 2 shown]
	v_sub_f32_e32 v10, v10, v13
	v_mul_f32_e32 v20, 0x3f4a47b2, v22
	v_sub_f32_e32 v22, v4, v5
	v_add_f32_e32 v6, v5, v6
	v_sub_f32_e32 v5, v5, v7
	v_add_f32_e32 v17, v12, v15
	v_sub_f32_e32 v2, v2, v9
	v_mul_f32_e32 v13, 0x3f4a47b2, v22
	v_add_f32_e32 v0, v0, v6
	v_sub_f32_e32 v23, v23, v24
	v_add_f32_e32 v11, v11, v24
	v_add_f32_e32 v17, v16, v17
	v_fmamk_f32 v9, v5, 0x3d64c772, v13
	v_fmamk_f32 v6, v6, 0xbf955555, v0
	v_sub_f32_e32 v8, v8, v3
	v_sub_f32_e32 v4, v7, v4
	v_mul_f32_e32 v19, 0x3f08b237, v25
	v_sub_f32_e32 v16, v16, v12
	v_add_f32_e32 v24, v9, v6
	v_mul_f32_e32 v9, 0xbf5ff5aa, v23
	v_add_f32_e32 v1, v1, v17
	v_sub_f32_e32 v3, v8, v10
	v_sub_f32_e32 v22, v2, v8
	v_add_f32_e32 v8, v8, v10
	v_sub_f32_e32 v12, v12, v15
	v_sub_f32_e32 v7, v10, v2
	v_fma_f32 v10, 0x3eae86e6, v18, -v9
	v_fma_f32 v9, 0xbf3bfb3b, v4, -v13
	v_fmamk_f32 v14, v18, 0xbeae86e6, v19
	v_mul_f32_e32 v21, 0x3d64c772, v16
	v_fmamk_f32 v17, v17, 0xbf955555, v1
	v_mul_f32_e32 v25, 0x3f08b237, v3
	v_mul_f32_e32 v5, 0x3d64c772, v5
	v_add_f32_e32 v2, v8, v2
	v_fma_f32 v8, 0xbf3bfb3b, v12, -v20
	v_mul_f32_e32 v13, 0xbf5ff5aa, v7
	v_add_f32_e32 v18, v9, v6
	v_fma_f32 v9, 0xbf5ff5aa, v23, -v19
	v_fmac_f32_e32 v14, 0xbee1c552, v11
	v_fmamk_f32 v16, v16, 0x3d64c772, v20
	v_fmamk_f32 v26, v22, 0xbeae86e6, v25
	v_fmac_f32_e32 v10, 0xbee1c552, v11
	v_add_f32_e32 v15, v8, v17
	v_fma_f32 v20, 0x3eae86e6, v22, -v13
	v_fma_f32 v8, 0x3f3bfb3b, v12, -v21
	;; [unrolled: 1-line block ×4, first 2 shown]
	v_fmac_f32_e32 v9, 0xbee1c552, v11
	v_mov_b32_e32 v11, 3
	v_add_f32_e32 v16, v16, v17
	v_fmac_f32_e32 v26, 0xbee1c552, v2
	v_fmac_f32_e32 v20, 0xbee1c552, v2
	v_add_f32_e32 v8, v8, v17
	v_fmac_f32_e32 v12, 0xbee1c552, v2
	v_add_f32_e32 v2, v4, v6
	v_lshlrev_b32_sdwa v17, v11, v234 dst_sel:DWORD dst_unused:UNUSED_PAD src0_sel:DWORD src1_sel:BYTE_0
	v_add_f32_e32 v3, v14, v16
	v_sub_f32_e32 v7, v8, v9
	v_add_f32_e32 v9, v9, v8
	v_add_f32_e32 v6, v12, v2
	v_sub_f32_e32 v8, v2, v12
	v_sub_f32_e32 v13, v16, v14
	v_add_f32_e32 v12, v26, v24
	v_add_nc_u32_e32 v14, 0x2000, v17
	v_add_f32_e32 v5, v10, v15
	v_sub_f32_e32 v11, v15, v10
	v_add_f32_e32 v10, v20, v18
	v_sub_f32_e32 v4, v18, v20
	v_add_nc_u32_e32 v15, 0x2800, v17
	v_sub_f32_e32 v2, v24, v26
	ds_write2_b64 v14, v[0:1], v[12:13] offset0:96 offset1:136
	ds_write2_b64 v14, v[10:11], v[8:9] offset0:176 offset1:216
	ds_write2_b64 v15, v[6:7], v[4:5] offset1:40
	ds_write_b64 v17, v[2:3] offset:10880
.LBB0_37:
	s_or_b32 exec_lo, exec_lo, s1
	v_add_nc_u32_e32 v23, 0x400, v213
	v_add_nc_u32_e32 v18, 0x1000, v213
	v_add_nc_u32_e32 v22, 0x1800, v213
	s_waitcnt lgkmcnt(0)
	s_barrier
	buffer_gl0_inv
	ds_read2_b64 v[0:3], v23 offset0:96 offset1:152
	ds_read2_b64 v[12:15], v18 offset0:48 offset1:104
	;; [unrolled: 1-line block ×3, first 2 shown]
	ds_read2_b64 v[4:7], v213 offset1:56
	v_add_nc_u32_e32 v20, 0x2000, v213
	v_add_nc_u32_e32 v21, 0x800, v213
	;; [unrolled: 1-line block ×3, first 2 shown]
	ds_read2_b64 v[8:11], v213 offset0:112 offset1:168
	v_add_nc_u32_e32 v19, 0x2400, v213
	ds_read2_b64 v[24:27], v20 offset0:96 offset1:152
	ds_read_b64 v[16:17], v213 offset:10752
	ds_read2_b64 v[32:35], v21 offset0:80 offset1:136
	ds_read2_b64 v[36:39], v22 offset0:128 offset1:184
	;; [unrolled: 1-line block ×6, first 2 shown]
	s_mov_b32 s2, 0xe434a9b1
	s_mov_b32 s3, 0x3f4767dc
	s_mul_hi_u32 s1, s8, 0x2bc
	s_waitcnt lgkmcnt(12)
	v_mul_f32_e32 v56, v81, v3
	v_mul_f32_e32 v57, v81, v2
	s_waitcnt lgkmcnt(10)
	v_mul_f32_e32 v81, v77, v31
	v_mul_f32_e32 v77, v77, v30
	;; [unrolled: 1-line block ×3, first 2 shown]
	v_fmac_f32_e32 v56, v80, v2
	v_fma_f32 v57, v80, v3, -v57
	v_fmac_f32_e32 v81, v76, v30
	v_fma_f32 v31, v76, v31, -v77
	s_waitcnt lgkmcnt(7)
	v_mul_f32_e32 v2, v79, v24
	s_waitcnt lgkmcnt(5)
	v_mul_f32_e32 v76, v69, v33
	v_mul_f32_e32 v3, v69, v32
	;; [unrolled: 1-line block ×4, first 2 shown]
	v_fma_f32 v77, v78, v25, -v2
	v_fmac_f32_e32 v76, v68, v32
	v_fma_f32 v68, v68, v33, -v3
	v_mul_f32_e32 v2, v71, v14
	s_waitcnt lgkmcnt(4)
	v_mul_f32_e32 v71, v73, v37
	v_mul_f32_e32 v3, v73, v36
	v_fmac_f32_e32 v58, v82, v12
	v_fmac_f32_e32 v69, v70, v14
	v_mul_f32_e32 v73, v75, v27
	v_mul_f32_e32 v12, v75, v26
	v_fma_f32 v70, v70, v15, -v2
	v_fmac_f32_e32 v71, v72, v36
	v_fma_f32 v72, v72, v37, -v3
	v_mul_f32_e32 v75, v65, v35
	v_mul_f32_e32 v2, v65, v34
	s_waitcnt lgkmcnt(3)
	v_mul_f32_e32 v65, v67, v41
	v_mul_f32_e32 v3, v67, v40
	;; [unrolled: 1-line block ×3, first 2 shown]
	v_fmac_f32_e32 v75, v64, v34
	v_fma_f32 v64, v64, v35, -v2
	v_fmac_f32_e32 v65, v66, v40
	v_fma_f32 v66, v66, v41, -v3
	v_mul_f32_e32 v2, v61, v38
	s_waitcnt lgkmcnt(2)
	v_mul_f32_e32 v61, v63, v45
	v_mul_f32_e32 v3, v63, v44
	v_fma_f32 v59, v82, v13, -v59
	v_mul_f32_e32 v13, v79, v25
	v_fmac_f32_e32 v73, v74, v26
	v_fma_f32 v74, v74, v27, -v12
	s_waitcnt lgkmcnt(1)
	v_mul_f32_e32 v12, v93, v48
	v_fmac_f32_e32 v61, v62, v44
	v_fma_f32 v62, v62, v45, -v3
	s_waitcnt lgkmcnt(0)
	v_mul_f32_e32 v80, v89, v53
	v_mul_f32_e32 v3, v89, v52
	v_fmac_f32_e32 v13, v78, v24
	v_fmac_f32_e32 v67, v60, v38
	v_fma_f32 v60, v60, v39, -v2
	v_fma_f32 v78, v92, v49, -v12
	v_mul_f32_e32 v2, v95, v42
	v_fmac_f32_e32 v80, v88, v52
	v_fma_f32 v88, v88, v53, -v3
	v_mul_f32_e32 v3, v97, v50
	v_mul_f32_e32 v12, v99, v28
	v_fma_f32 v83, v94, v43, -v2
	v_mul_f32_e32 v2, v91, v46
	v_mul_f32_e32 v26, v99, v29
	v_fma_f32 v24, v96, v51, -v3
	v_fma_f32 v25, v98, v29, -v12
	v_mul_f32_e32 v3, v85, v54
	v_add_f32_e32 v12, v4, v56
	v_fma_f32 v89, v90, v47, -v2
	v_fmac_f32_e32 v26, v98, v28
	v_add_f32_e32 v2, v58, v81
	v_mul_f32_e32 v29, v85, v55
	v_mul_f32_e32 v85, v87, v17
	v_fma_f32 v28, v84, v55, -v3
	v_add_f32_e32 v3, v12, v58
	v_fma_f32 v2, -0.5, v2, v4
	v_sub_f32_e32 v15, v57, v77
	v_fmac_f32_e32 v85, v86, v16
	v_sub_f32_e32 v14, v56, v58
	v_sub_f32_e32 v30, v13, v81
	v_add_f32_e32 v33, v56, v13
	v_mul_f32_e32 v16, v87, v16
	v_add_f32_e32 v3, v3, v81
	v_fmamk_f32 v12, v15, 0xbf737871, v2
	v_sub_f32_e32 v32, v59, v31
	v_add_f32_e32 v34, v14, v30
	v_fma_f32 v14, -0.5, v33, v4
	v_fma_f32 v30, v86, v17, -v16
	v_add_f32_e32 v4, v3, v13
	v_fmac_f32_e32 v2, 0x3f737871, v15
	v_sub_f32_e32 v3, v58, v56
	v_sub_f32_e32 v17, v81, v13
	v_add_f32_e32 v33, v5, v57
	v_add_f32_e32 v35, v59, v31
	v_fmac_f32_e32 v12, 0xbf167918, v32
	v_fmamk_f32 v16, v32, 0x3f737871, v14
	v_fmac_f32_e32 v2, 0x3f167918, v32
	v_add_f32_e32 v17, v3, v17
	v_fmac_f32_e32 v14, 0xbf737871, v32
	v_add_f32_e32 v32, v33, v59
	v_fma_f32 v3, -0.5, v35, v5
	v_sub_f32_e32 v35, v56, v13
	v_fmac_f32_e32 v12, 0x3e9e377a, v34
	v_fmac_f32_e32 v16, 0xbf167918, v15
	;; [unrolled: 1-line block ×4, first 2 shown]
	v_add_f32_e32 v32, v32, v31
	v_fmamk_f32 v13, v35, 0x3f737871, v3
	v_add_f32_e32 v15, v57, v77
	v_sub_f32_e32 v33, v58, v81
	v_sub_f32_e32 v34, v57, v59
	;; [unrolled: 1-line block ×3, first 2 shown]
	v_fmac_f32_e32 v3, 0xbf737871, v35
	v_fma_f32 v15, -0.5, v15, v5
	v_add_f32_e32 v5, v32, v77
	v_fmac_f32_e32 v13, 0x3f167918, v33
	v_add_f32_e32 v32, v34, v36
	v_fmac_f32_e32 v3, 0xbf167918, v33
	;; [unrolled: 2-line block ×3, first 2 shown]
	v_fmac_f32_e32 v14, 0x3e9e377a, v17
	v_fmamk_f32 v17, v33, 0xbf737871, v15
	v_sub_f32_e32 v34, v59, v57
	v_sub_f32_e32 v31, v31, v77
	v_fmac_f32_e32 v13, 0x3e9e377a, v32
	v_add_f32_e32 v36, v69, v71
	v_fmac_f32_e32 v3, 0x3e9e377a, v32
	v_fmac_f32_e32 v15, 0x3f737871, v33
	v_add_f32_e32 v32, v37, v69
	v_fmac_f32_e32 v17, 0x3f167918, v35
	v_add_f32_e32 v34, v34, v31
	v_fma_f32 v31, -0.5, v36, v6
	v_sub_f32_e32 v36, v68, v74
	v_add_f32_e32 v40, v76, v73
	v_fmac_f32_e32 v15, 0xbf167918, v35
	v_add_f32_e32 v32, v32, v71
	v_mul_f32_e32 v79, v95, v43
	v_fmac_f32_e32 v17, 0x3e9e377a, v34
	v_fmamk_f32 v33, v36, 0xbf737871, v31
	v_sub_f32_e32 v38, v70, v72
	v_sub_f32_e32 v37, v76, v69
	;; [unrolled: 1-line block ×3, first 2 shown]
	v_fma_f32 v6, -0.5, v40, v6
	v_fmac_f32_e32 v15, 0x3e9e377a, v34
	v_add_f32_e32 v35, v32, v73
	v_fmac_f32_e32 v31, 0x3f737871, v36
	v_sub_f32_e32 v32, v69, v76
	v_sub_f32_e32 v34, v71, v73
	v_add_f32_e32 v40, v7, v68
	v_add_f32_e32 v41, v70, v72
	v_fmac_f32_e32 v79, v94, v42
	v_fmac_f32_e32 v33, 0xbf167918, v38
	v_add_f32_e32 v39, v37, v39
	v_fmamk_f32 v37, v38, 0x3f737871, v6
	v_fmac_f32_e32 v31, 0x3f167918, v38
	v_add_f32_e32 v42, v32, v34
	v_fmac_f32_e32 v6, 0xbf737871, v38
	v_add_f32_e32 v34, v40, v70
	v_fma_f32 v32, -0.5, v41, v7
	v_sub_f32_e32 v40, v76, v73
	v_fmac_f32_e32 v33, 0x3e9e377a, v39
	v_fmac_f32_e32 v37, 0xbf167918, v36
	;; [unrolled: 1-line block ×4, first 2 shown]
	v_add_f32_e32 v36, v34, v72
	v_fmamk_f32 v34, v40, 0x3f737871, v32
	v_add_f32_e32 v38, v68, v74
	v_sub_f32_e32 v41, v69, v71
	v_sub_f32_e32 v39, v68, v70
	;; [unrolled: 1-line block ×3, first 2 shown]
	v_fmac_f32_e32 v32, 0xbf737871, v40
	v_fmac_f32_e32 v37, 0x3e9e377a, v42
	;; [unrolled: 1-line block ×3, first 2 shown]
	v_fmac_f32_e32 v7, -0.5, v38
	v_fmac_f32_e32 v34, 0x3f167918, v41
	v_add_f32_e32 v42, v39, v43
	v_fmac_f32_e32 v32, 0xbf167918, v41
	v_add_f32_e32 v45, v8, v75
	v_mul_f32_e32 v63, v93, v49
	v_fmamk_f32 v38, v41, 0xbf737871, v7
	v_sub_f32_e32 v39, v70, v68
	v_sub_f32_e32 v43, v72, v74
	v_fmac_f32_e32 v34, 0x3e9e377a, v42
	v_add_f32_e32 v44, v65, v67
	v_fmac_f32_e32 v32, 0x3e9e377a, v42
	v_fmac_f32_e32 v7, 0x3f737871, v41
	v_add_f32_e32 v42, v45, v65
	v_fmac_f32_e32 v63, v92, v48
	v_mul_f32_e32 v82, v91, v47
	v_fmac_f32_e32 v38, 0x3f167918, v40
	v_add_f32_e32 v43, v39, v43
	v_fma_f32 v39, -0.5, v44, v8
	v_sub_f32_e32 v44, v64, v62
	v_sub_f32_e32 v45, v75, v65
	;; [unrolled: 1-line block ×3, first 2 shown]
	v_add_f32_e32 v48, v75, v61
	v_fmac_f32_e32 v7, 0xbf167918, v40
	v_add_f32_e32 v40, v42, v67
	v_fmac_f32_e32 v82, v90, v46
	v_fmac_f32_e32 v38, 0x3e9e377a, v43
	v_fmamk_f32 v41, v44, 0xbf737871, v39
	v_sub_f32_e32 v46, v66, v60
	v_add_f32_e32 v42, v45, v47
	v_fma_f32 v8, -0.5, v48, v8
	v_fmac_f32_e32 v7, 0x3e9e377a, v43
	v_add_f32_e32 v43, v40, v61
	v_fmac_f32_e32 v39, 0x3f737871, v44
	v_sub_f32_e32 v40, v65, v75
	v_sub_f32_e32 v47, v67, v61
	v_add_f32_e32 v48, v9, v64
	v_add_f32_e32 v49, v66, v60
	v_mul_f32_e32 v27, v97, v51
	v_fmac_f32_e32 v41, 0xbf167918, v46
	v_fmamk_f32 v45, v46, 0x3f737871, v8
	v_fmac_f32_e32 v39, 0x3f167918, v46
	v_add_f32_e32 v47, v40, v47
	v_fmac_f32_e32 v8, 0xbf737871, v46
	v_add_f32_e32 v46, v48, v66
	v_fma_f32 v40, -0.5, v49, v9
	v_sub_f32_e32 v48, v75, v61
	v_fmac_f32_e32 v27, v96, v50
	v_fmac_f32_e32 v41, 0x3e9e377a, v42
	;; [unrolled: 1-line block ×5, first 2 shown]
	v_add_f32_e32 v44, v46, v60
	v_fmamk_f32 v42, v48, 0x3f737871, v40
	v_add_f32_e32 v46, v64, v62
	v_sub_f32_e32 v49, v65, v67
	v_sub_f32_e32 v50, v64, v66
	;; [unrolled: 1-line block ×3, first 2 shown]
	v_fmac_f32_e32 v40, 0xbf737871, v48
	v_fmac_f32_e32 v45, 0x3e9e377a, v47
	;; [unrolled: 1-line block ×3, first 2 shown]
	v_fma_f32 v9, -0.5, v46, v9
	v_fmac_f32_e32 v42, 0x3f167918, v49
	v_add_f32_e32 v50, v50, v51
	v_sub_f32_e32 v47, v66, v64
	v_sub_f32_e32 v51, v60, v62
	v_add_f32_e32 v52, v79, v80
	v_fmac_f32_e32 v40, 0xbf167918, v49
	v_add_f32_e32 v53, v10, v63
	v_fmamk_f32 v46, v49, 0xbf737871, v9
	v_fmac_f32_e32 v42, 0x3e9e377a, v50
	v_add_f32_e32 v51, v47, v51
	v_fma_f32 v47, -0.5, v52, v10
	v_sub_f32_e32 v52, v78, v89
	v_fmac_f32_e32 v40, 0x3e9e377a, v50
	v_fmac_f32_e32 v9, 0x3f737871, v49
	v_add_f32_e32 v50, v53, v79
	v_add_f32_e32 v56, v63, v82
	v_fmac_f32_e32 v29, v84, v54
	v_fmac_f32_e32 v46, 0x3f167918, v48
	v_fmamk_f32 v49, v52, 0xbf737871, v47
	v_sub_f32_e32 v54, v83, v88
	v_sub_f32_e32 v53, v63, v79
	;; [unrolled: 1-line block ×3, first 2 shown]
	v_fmac_f32_e32 v9, 0xbf167918, v48
	v_add_f32_e32 v48, v50, v80
	v_fma_f32 v10, -0.5, v56, v10
	v_fmac_f32_e32 v47, 0x3f737871, v52
	v_add_f32_e32 v56, v11, v78
	v_fmac_f32_e32 v46, 0x3e9e377a, v51
	v_fmac_f32_e32 v49, 0xbf167918, v54
	v_add_f32_e32 v50, v53, v55
	v_fmac_f32_e32 v9, 0x3e9e377a, v51
	v_add_f32_e32 v51, v48, v82
	v_fmamk_f32 v53, v54, 0x3f737871, v10
	v_sub_f32_e32 v48, v79, v63
	v_sub_f32_e32 v55, v80, v82
	v_fmac_f32_e32 v47, 0x3f167918, v54
	v_add_f32_e32 v57, v83, v88
	v_fmac_f32_e32 v10, 0xbf737871, v54
	v_add_f32_e32 v54, v56, v83
	;; [unrolled: 2-line block ×3, first 2 shown]
	v_fma_f32 v48, -0.5, v57, v11
	v_sub_f32_e32 v56, v63, v82
	v_fmac_f32_e32 v10, 0x3f167918, v52
	v_add_f32_e32 v52, v54, v88
	v_add_f32_e32 v54, v78, v89
	v_sub_f32_e32 v58, v78, v83
	v_sub_f32_e32 v59, v89, v88
	v_fmac_f32_e32 v49, 0x3e9e377a, v50
	v_fmac_f32_e32 v47, 0x3e9e377a, v50
	v_fmac_f32_e32 v53, 0x3e9e377a, v55
	v_fmamk_f32 v50, v56, 0x3f737871, v48
	v_sub_f32_e32 v57, v79, v80
	v_fmac_f32_e32 v10, 0x3e9e377a, v55
	v_fmac_f32_e32 v11, -0.5, v54
	v_add_f32_e32 v58, v58, v59
	v_fmac_f32_e32 v48, 0xbf737871, v56
	v_sub_f32_e32 v55, v83, v78
	v_sub_f32_e32 v59, v88, v89
	v_add_f32_e32 v60, v26, v29
	v_fmac_f32_e32 v50, 0x3f167918, v57
	v_fmamk_f32 v54, v57, 0xbf737871, v11
	v_fmac_f32_e32 v48, 0xbf167918, v57
	v_add_f32_e32 v59, v55, v59
	v_fmac_f32_e32 v11, 0x3f737871, v57
	v_add_f32_e32 v57, v0, v27
	v_fma_f32 v55, -0.5, v60, v0
	v_sub_f32_e32 v60, v24, v30
	v_add_f32_e32 v44, v44, v62
	v_fmac_f32_e32 v50, 0x3e9e377a, v58
	v_fmac_f32_e32 v54, 0x3f167918, v56
	v_fmac_f32_e32 v48, 0x3e9e377a, v58
	v_fmac_f32_e32 v11, 0xbf167918, v56
	v_add_f32_e32 v56, v57, v26
	v_fmamk_f32 v57, v60, 0xbf737871, v55
	v_sub_f32_e32 v58, v25, v28
	v_sub_f32_e32 v61, v27, v26
	;; [unrolled: 1-line block ×3, first 2 shown]
	v_fmac_f32_e32 v55, 0x3f737871, v60
	v_add_f32_e32 v63, v27, v85
	v_add_f32_e32 v56, v56, v29
	v_fmac_f32_e32 v57, 0xbf167918, v58
	v_add_f32_e32 v61, v61, v62
	v_fmac_f32_e32 v55, 0x3f167918, v58
	v_fma_f32 v0, -0.5, v63, v0
	v_sub_f32_e32 v62, v26, v27
	v_sub_f32_e32 v63, v29, v85
	v_fmac_f32_e32 v54, 0x3e9e377a, v59
	v_fmac_f32_e32 v11, 0x3e9e377a, v59
	v_add_f32_e32 v59, v56, v85
	v_fmac_f32_e32 v57, 0x3e9e377a, v61
	v_fmac_f32_e32 v55, 0x3e9e377a, v61
	v_fmamk_f32 v61, v58, 0x3f737871, v0
	v_add_f32_e32 v56, v25, v28
	v_fmac_f32_e32 v0, 0xbf737871, v58
	v_add_f32_e32 v58, v1, v24
	v_add_f32_e32 v62, v62, v63
	v_add_f32_e32 v63, v24, v30
	v_fma_f32 v56, -0.5, v56, v1
	v_fmac_f32_e32 v61, 0xbf167918, v60
	v_fmac_f32_e32 v0, 0x3f167918, v60
	v_add_f32_e32 v60, v58, v25
	v_sub_f32_e32 v26, v26, v29
	v_fmac_f32_e32 v1, -0.5, v63
	v_sub_f32_e32 v27, v27, v85
	v_fmac_f32_e32 v61, 0x3e9e377a, v62
	v_fmac_f32_e32 v0, 0x3e9e377a, v62
	v_add_f32_e32 v29, v60, v28
	v_sub_f32_e32 v60, v24, v25
	v_fmamk_f32 v62, v26, 0xbf737871, v1
	v_sub_f32_e32 v24, v25, v24
	v_sub_f32_e32 v25, v28, v30
	v_fmac_f32_e32 v1, 0x3f737871, v26
	v_fmamk_f32 v58, v27, 0x3f737871, v56
	v_sub_f32_e32 v63, v30, v28
	v_fmac_f32_e32 v56, 0xbf737871, v27
	v_add_f32_e32 v24, v24, v25
	v_fmac_f32_e32 v1, 0xbf167918, v27
	v_fmac_f32_e32 v58, 0x3f167918, v26
	v_add_f32_e32 v28, v60, v63
	v_fmac_f32_e32 v56, 0xbf167918, v26
	;; [unrolled: 3-line block ×3, first 2 shown]
	v_add_f32_e32 v52, v52, v89
	v_add_f32_e32 v60, v29, v30
	v_fmac_f32_e32 v58, 0x3e9e377a, v28
	v_fmac_f32_e32 v56, 0x3e9e377a, v28
	;; [unrolled: 1-line block ×3, first 2 shown]
	ds_write_b64 v213, v[12:13] offset:2240
	ds_write_b64 v213, v[16:17] offset:4480
	;; [unrolled: 1-line block ×4, first 2 shown]
	ds_write2_b64 v213, v[4:5], v[35:36] offset1:56
	ds_write2_b64 v21, v[33:34], v[41:42] offset0:80 offset1:136
	ds_write2_b64 v18, v[37:38], v[45:46] offset0:104 offset1:160
	;; [unrolled: 1-line block ×5, first 2 shown]
	ds_write_b64 v213, v[53:54] offset:5824
	ds_write_b64 v213, v[10:11] offset:8064
	;; [unrolled: 1-line block ×4, first 2 shown]
	ds_write2_b64 v21, v[49:50], v[57:58] offset0:192 offset1:248
	ds_write_b64 v213, v[61:62] offset:6272
	ds_write_b64 v213, v[0:1] offset:8512
	;; [unrolled: 1-line block ×3, first 2 shown]
	s_waitcnt lgkmcnt(0)
	s_barrier
	buffer_gl0_inv
	ds_read2_b64 v[0:3], v213 offset1:56
	ds_read2_b64 v[4:7], v18 offset0:188 offset1:244
	v_mad_u64_u32 v[12:13], null, s10, v176, 0
	v_mad_u64_u32 v[14:15], null, s8, v215, 0
	s_waitcnt lgkmcnt(1)
	v_mul_f32_e32 v8, v202, v1
	s_waitcnt lgkmcnt(0)
	v_mul_f32_e32 v10, v204, v5
	v_mul_f32_e32 v16, v204, v4
	v_fmac_f32_e32 v8, v201, v0
	v_mul_f32_e32 v0, v202, v0
	v_fmac_f32_e32 v10, v203, v4
	v_mov_b32_e32 v4, v13
	v_fma_f32 v13, v203, v5, -v16
	v_cvt_f64_f32_e32 v[8:9], v8
	v_fma_f32 v0, v201, v1, -v0
	v_cvt_f64_f32_e32 v[10:11], v10
	v_mad_u64_u32 v[4:5], null, s11, v176, v[4:5]
	v_mov_b32_e32 v5, v15
	v_cvt_f64_f32_e32 v[0:1], v0
	v_mul_f32_e32 v15, v200, v3
	v_cvt_f64_f32_e32 v[16:17], v13
	v_mad_u64_u32 v[24:25], null, s9, v215, v[5:6]
	v_fmac_f32_e32 v15, v199, v2
	v_mul_f32_e32 v2, v200, v2
	v_mov_b32_e32 v13, v4
	v_fma_f32 v27, v199, v3, -v2
	ds_read2_b64 v[2:5], v213 offset0:112 offset1:168
	v_lshlrev_b64 v[12:13], 3, v[12:13]
	v_mul_f64 v[8:9], v[8:9], s[2:3]
	v_cvt_f64_f32_e32 v[27:28], v27
	v_mul_f64 v[10:11], v[10:11], s[2:3]
	v_mul_f64 v[0:1], v[0:1], s[2:3]
	s_waitcnt lgkmcnt(0)
	v_mul_f32_e32 v33, v196, v3
	v_mul_f32_e32 v41, v190, v5
	v_cvt_f32_f64_e32 v25, v[8:9]
	v_cvt_f64_f32_e32 v[8:9], v15
	v_mov_b32_e32 v15, v24
	v_mul_f32_e32 v24, v198, v6
	v_fmac_f32_e32 v33, v195, v2
	v_mul_f64 v[27:28], v[27:28], s[2:3]
	v_cvt_f32_f64_e32 v26, v[0:1]
	v_add_co_u32 v0, s0, s6, v12
	v_add_co_ci_u32_e64 v1, s0, s7, v13, s0
	v_mul_f64 v[12:13], v[16:17], s[2:3]
	v_mul_f32_e32 v17, v198, v7
	v_cvt_f32_f64_e32 v16, v[10:11]
	v_lshlrev_b64 v[14:15], 3, v[14:15]
	v_fmac_f32_e32 v41, v189, v4
	v_fmac_f32_e32 v17, v197, v6
	v_fma_f32 v6, v197, v7, -v24
	v_mul_f32_e32 v7, v196, v2
	v_add_co_u32 v14, s0, v0, v14
	v_cvt_f64_f32_e32 v[29:30], v17
	v_mul_f64 v[10:11], v[8:9], s[2:3]
	v_cvt_f64_f32_e32 v[31:32], v6
	v_fma_f32 v24, v195, v3, -v7
	ds_read2_b64 v[6:9], v22 offset0:44 offset1:100
	v_cvt_f64_f32_e32 v[2:3], v33
	v_add_co_ci_u32_e64 v15, s0, v1, v15, s0
	v_cvt_f64_f32_e32 v[33:34], v24
	s_mul_i32 s0, s9, 0x2bc
	v_cvt_f32_f64_e32 v38, v[27:28]
	v_cvt_f32_f64_e32 v17, v[12:13]
	s_add_i32 s1, s1, s0
	s_mul_i32 s0, s8, 0x2bc
	s_lshl_b64 s[4:5], s[0:1], 3
	s_mul_i32 s1, s9, 0xfffffd7c
	v_add_co_u32 v35, s0, v14, s4
	v_add_co_ci_u32_e64 v36, s0, s5, v15, s0
	s_mul_hi_u32 s0, s8, 0xfffffd7c
	v_cvt_f32_f64_e32 v37, v[10:11]
	ds_read2_b64 v[10:13], v23 offset0:96 offset1:152
	s_waitcnt lgkmcnt(1)
	v_mul_f32_e32 v40, v192, v6
	v_mul_f32_e32 v39, v192, v7
	v_mul_f64 v[23:24], v[29:30], s[2:3]
	v_mul_f64 v[29:30], v[2:3], s[2:3]
	v_mul_f32_e32 v3, v190, v4
	v_fma_f32 v2, v191, v7, -v40
	v_fmac_f32_e32 v39, v191, v6
	v_mul_f64 v[6:7], v[33:34], s[2:3]
	v_mul_f64 v[27:28], v[31:32], s[2:3]
	v_mul_f32_e32 v43, v194, v9
	v_cvt_f64_f32_e32 v[33:34], v2
	v_fma_f32 v2, v189, v5, -v3
	v_mul_f32_e32 v3, v194, v8
	v_cvt_f64_f32_e32 v[31:32], v39
	v_cvt_f64_f32_e32 v[39:40], v41
	v_fmac_f32_e32 v43, v193, v8
	v_cvt_f64_f32_e32 v[41:42], v2
	v_fma_f32 v46, v193, v9, -v3
	ds_read2_b64 v[2:5], v22 offset0:156 offset1:212
	s_waitcnt lgkmcnt(1)
	v_mul_f32_e32 v45, v184, v11
	v_mul_f32_e32 v44, v184, v10
	s_sub_i32 s0, s0, s8
	s_add_i32 s1, s0, s1
	v_fmac_f32_e32 v45, v183, v10
	v_fma_f32 v22, v183, v11, -v44
	v_cvt_f64_f32_e32 v[10:11], v43
	v_cvt_f64_f32_e32 v[43:44], v46
	s_mul_i32 s0, s8, 0xfffffd7c
	v_cvt_f64_f32_e32 v[45:46], v45
	v_cvt_f64_f32_e32 v[47:48], v22
	s_lshl_b64 s[6:7], s[0:1], 3
	v_add_co_u32 v8, s0, v35, s6
	v_add_co_ci_u32_e64 v9, s0, s7, v36, s0
	global_store_dwordx2 v[14:15], v[25:26], off
	global_store_dwordx2 v[35:36], v[16:17], off
	;; [unrolled: 1-line block ×3, first 2 shown]
	v_cvt_f32_f64_e32 v14, v[23:24]
	v_mul_f64 v[24:25], v[39:40], s[2:3]
	s_waitcnt lgkmcnt(0)
	v_mul_f32_e32 v39, v188, v3
	v_mul_f64 v[22:23], v[33:34], s[2:3]
	v_mul_f64 v[16:17], v[31:32], s[2:3]
	v_cvt_f32_f64_e32 v15, v[27:28]
	v_mul_f64 v[26:27], v[41:42], s[2:3]
	v_fmac_f32_e32 v39, v187, v2
	v_add_co_u32 v31, s0, v8, s4
	v_mul_f64 v[10:11], v[10:11], s[2:3]
	v_mul_f64 v[33:34], v[43:44], s[2:3]
	;; [unrolled: 1-line block ×4, first 2 shown]
	v_cvt_f64_f32_e32 v[39:40], v39
	v_add_co_ci_u32_e64 v32, s0, s5, v9, s0
	v_cvt_f32_f64_e32 v28, v[29:30]
	v_cvt_f32_f64_e32 v29, v[6:7]
	ds_read2_b64 v[6:9], v21 offset0:80 offset1:136
	v_mul_f32_e32 v2, v188, v2
	v_mul_f32_e32 v30, v186, v12
	v_add_co_u32 v41, s0, v31, s6
	v_add_co_ci_u32_e64 v42, s0, s7, v32, s0
	v_fma_f32 v2, v187, v3, -v2
	v_mul_f32_e32 v3, v186, v13
	v_fma_f32 v30, v185, v13, -v30
	v_cvt_f32_f64_e32 v16, v[16:17]
	v_cvt_f32_f64_e32 v17, v[22:23]
	;; [unrolled: 1-line block ×7, first 2 shown]
	v_mul_f64 v[35:36], v[39:40], s[2:3]
	v_cvt_f64_f32_e32 v[37:38], v2
	v_fmac_f32_e32 v3, v185, v12
	v_mul_f32_e32 v2, v182, v5
	v_mul_f32_e32 v39, v182, v4
	v_cvt_f32_f64_e32 v25, v[26:27]
	v_add_co_u32 v22, s0, v41, s4
	v_cvt_f64_f32_e32 v[12:13], v3
	v_fmac_f32_e32 v2, v181, v4
	v_fma_f32 v3, v181, v5, -v39
	s_waitcnt lgkmcnt(0)
	v_mul_f32_e32 v47, v180, v7
	v_add_co_ci_u32_e64 v23, s0, s5, v42, s0
	v_cvt_f64_f32_e32 v[43:44], v2
	v_cvt_f64_f32_e32 v[45:46], v3
	ds_read2_b64 v[2:5], v20 offset0:12 offset1:68
	v_add_co_u32 v26, s0, v22, s6
	v_fmac_f32_e32 v47, v179, v6
	v_mul_f32_e32 v6, v180, v6
	v_add_co_ci_u32_e64 v27, s0, s7, v23, s0
	v_cvt_f64_f32_e32 v[39:40], v30
	global_store_dwordx2 v[31:32], v[14:15], off
	v_fma_f32 v30, v179, v7, -v6
	v_add_co_u32 v6, s0, v26, s4
	v_add_co_ci_u32_e64 v7, s0, s5, v27, s0
	v_cvt_f64_f32_e32 v[47:48], v47
	v_add_co_u32 v14, s0, v6, s6
	v_add_co_ci_u32_e64 v15, s0, s7, v7, s0
	global_store_dwordx2 v[41:42], v[28:29], off
	global_store_dwordx2 v[22:23], v[16:17], off
	;; [unrolled: 1-line block ×5, first 2 shown]
	v_mul_f64 v[16:17], v[37:38], s[2:3]
	s_waitcnt lgkmcnt(0)
	v_mul_f32_e32 v6, v178, v3
	v_cvt_f64_f32_e32 v[49:50], v30
	v_mul_f32_e32 v7, v178, v2
	v_mul_f32_e32 v34, v173, v9
	v_cvt_f32_f64_e32 v10, v[35:36]
	v_fmac_f32_e32 v6, v177, v2
	v_mul_f32_e32 v35, v175, v5
	v_fma_f32 v7, v177, v3, -v7
	v_mul_f32_e32 v11, v175, v4
	v_fmac_f32_e32 v34, v172, v8
	v_cvt_f64_f32_e32 v[30:31], v6
	v_mul_f32_e32 v6, v173, v8
	v_mul_f64 v[12:13], v[12:13], s[2:3]
	v_mul_f64 v[22:23], v[39:40], s[2:3]
	;; [unrolled: 1-line block ×4, first 2 shown]
	v_fma_f32 v36, v172, v9, -v6
	v_mul_f64 v[28:29], v[47:48], s[2:3]
	v_cvt_f64_f32_e32 v[32:33], v7
	ds_read2_b64 v[6:9], v21 offset0:192 offset1:248
	v_fmac_f32_e32 v35, v174, v4
	v_fma_f32 v21, v174, v5, -v11
	v_cvt_f32_f64_e32 v11, v[16:17]
	v_cvt_f64_f32_e32 v[4:5], v34
	v_cvt_f64_f32_e32 v[16:17], v36
	v_mul_f64 v[2:3], v[49:50], s[2:3]
	v_cvt_f64_f32_e32 v[34:35], v35
	v_cvt_f64_f32_e32 v[36:37], v21
	v_add_co_u32 v14, s0, v14, s4
	v_add_co_ci_u32_e64 v15, s0, s5, v15, s0
	v_add_co_u32 v21, s0, v14, s6
	v_cvt_f32_f64_e32 v12, v[12:13]
	v_cvt_f32_f64_e32 v13, v[22:23]
	;; [unrolled: 1-line block ×5, first 2 shown]
	v_mul_f64 v[27:28], v[30:31], s[2:3]
	v_mul_f64 v[29:30], v[32:33], s[2:3]
	s_waitcnt lgkmcnt(0)
	v_mul_f32_e32 v38, v161, v7
	v_add_co_ci_u32_e64 v22, s0, s7, v15, s0
	v_mul_f64 v[31:32], v[4:5], s[2:3]
	v_mul_f64 v[16:17], v[16:17], s[2:3]
	v_cvt_f32_f64_e32 v26, v[2:3]
	ds_read2_b64 v[2:5], v20 offset0:124 offset1:180
	v_fmac_f32_e32 v38, v160, v6
	v_mul_f32_e32 v6, v161, v6
	v_add_co_u32 v39, s0, v21, s4
	v_add_co_ci_u32_e64 v40, s0, s5, v22, s0
	v_fma_f32 v20, v160, v7, -v6
	v_add_co_u32 v6, s0, v39, s6
	v_mul_f64 v[33:34], v[34:35], s[2:3]
	v_mul_f64 v[35:36], v[36:37], s[2:3]
	v_cvt_f64_f32_e32 v[37:38], v38
	v_add_co_ci_u32_e64 v7, s0, s7, v40, s0
	global_store_dwordx2 v[14:15], v[10:11], off
	global_store_dwordx2 v[21:22], v[12:13], off
	;; [unrolled: 1-line block ×4, first 2 shown]
	v_cvt_f32_f64_e32 v10, v[27:28]
	v_cvt_f32_f64_e32 v11, v[29:30]
	;; [unrolled: 1-line block ×4, first 2 shown]
	v_cvt_f64_f32_e32 v[41:42], v20
	s_waitcnt lgkmcnt(0)
	v_mul_f32_e32 v13, v171, v3
	v_mul_f32_e32 v12, v171, v2
	v_mad_u64_u32 v[24:25], null, s8, v214, 0
	v_fmac_f32_e32 v13, v170, v2
	v_fma_f32 v16, v170, v3, -v12
	v_add_co_u32 v2, s0, v6, s4
	v_add_co_ci_u32_e64 v3, s0, s5, v7, s0
	v_mov_b32_e32 v12, v25
	v_cvt_f64_f32_e32 v[28:29], v16
	v_add_co_u32 v16, s0, v2, s6
	v_add_co_ci_u32_e64 v17, s0, s7, v3, s0
	v_mad_u64_u32 v[30:31], null, s9, v214, v[12:13]
	v_cvt_f32_f64_e32 v20, v[33:34]
	v_cvt_f32_f64_e32 v21, v[35:36]
	v_mul_f64 v[22:23], v[37:38], s[2:3]
	v_cvt_f64_f32_e32 v[26:27], v13
	v_add_co_u32 v31, s0, v16, s4
	v_add_co_ci_u32_e64 v32, s0, s5, v17, s0
	global_store_dwordx2 v[2:3], v[10:11], off
	global_store_dwordx2 v[16:17], v[14:15], off
	ds_read2_b64 v[14:17], v19 offset0:108 offset1:164
	v_mul_f64 v[6:7], v[41:42], s[2:3]
	ds_read2_b64 v[10:13], v18 offset0:48 offset1:104
	v_mov_b32_e32 v25, v30
	global_store_dwordx2 v[31:32], v[20:21], off
	v_cvt_f32_f64_e32 v2, v[22:23]
	v_mul_f32_e32 v22, v159, v9
	v_mul_f32_e32 v20, v159, v8
	v_mul_f64 v[18:19], v[26:27], s[2:3]
	v_mul_f32_e32 v26, v163, v5
	v_mul_f32_e32 v27, v163, v4
	s_waitcnt lgkmcnt(1)
	v_mul_f32_e32 v30, v157, v15
	v_fmac_f32_e32 v22, v158, v8
	s_waitcnt lgkmcnt(0)
	v_mul_f32_e32 v33, v167, v12
	v_cvt_f32_f64_e32 v3, v[6:7]
	v_lshlrev_b64 v[6:7], 3, v[24:25]
	v_fma_f32 v24, v158, v9, -v20
	v_mul_f64 v[8:9], v[28:29], s[2:3]
	v_mul_f32_e32 v28, v165, v11
	v_mul_f32_e32 v29, v165, v10
	v_fmac_f32_e32 v26, v162, v4
	v_fma_f32 v27, v162, v5, -v27
	v_fmac_f32_e32 v30, v156, v14
	v_mul_f32_e32 v14, v157, v14
	v_mad_u64_u32 v[20:21], null, 0x1c0, s8, v[31:32]
	v_mul_f32_e32 v32, v167, v13
	v_mul_f32_e32 v34, v169, v17
	;; [unrolled: 1-line block ×3, first 2 shown]
	v_fmac_f32_e32 v28, v164, v10
	v_fma_f32 v29, v164, v11, -v29
	v_cvt_f64_f32_e32 v[4:5], v26
	v_cvt_f64_f32_e32 v[10:11], v27
	v_fma_f32 v14, v156, v15, -v14
	v_fma_f32 v33, v166, v13, -v33
	v_fmac_f32_e32 v32, v166, v12
	v_fmac_f32_e32 v34, v168, v16
	v_fma_f32 v35, v168, v17, -v35
	v_cvt_f64_f32_e32 v[22:23], v22
	v_cvt_f64_f32_e32 v[24:25], v24
	;; [unrolled: 1-line block ×10, first 2 shown]
	v_add_co_u32 v0, s0, v0, v6
	v_add_co_ci_u32_e64 v1, s0, v1, v7, s0
	v_mov_b32_e32 v6, v21
	v_mul_f64 v[4:5], v[4:5], s[2:3]
	v_mul_f64 v[10:11], v[10:11], s[2:3]
	global_store_dwordx2 v[0:1], v[2:3], off
	v_cvt_f32_f64_e32 v0, v[18:19]
	v_mad_u64_u32 v[2:3], null, 0x1c0, s9, v[6:7]
	v_cvt_f32_f64_e32 v1, v[8:9]
	v_mul_f64 v[22:23], v[22:23], s[2:3]
	v_mul_f64 v[24:25], v[24:25], s[2:3]
	;; [unrolled: 1-line block ×10, first 2 shown]
	v_mov_b32_e32 v21, v2
	v_add_co_u32 v8, s0, v20, s6
	v_add_co_ci_u32_e64 v9, s0, s7, v21, s0
	v_cvt_f32_f64_e32 v4, v[4:5]
	v_cvt_f32_f64_e32 v5, v[10:11]
	v_add_co_u32 v10, s0, v8, s4
	v_add_co_ci_u32_e64 v11, s0, s5, v9, s0
	v_cvt_f32_f64_e32 v2, v[22:23]
	v_cvt_f32_f64_e32 v3, v[24:25]
	;; [unrolled: 1-line block ×6, first 2 shown]
	v_add_co_u32 v16, s0, v10, s6
	v_cvt_f32_f64_e32 v18, v[26:27]
	v_add_co_ci_u32_e64 v17, s0, s7, v11, s0
	v_cvt_f32_f64_e32 v12, v[14:15]
	v_cvt_f32_f64_e32 v14, v[28:29]
	;; [unrolled: 1-line block ×3, first 2 shown]
	v_add_co_u32 v22, s0, v16, s4
	v_add_co_ci_u32_e64 v23, s0, s5, v17, s0
	global_store_dwordx2 v[20:21], v[0:1], off
	v_add_co_u32 v20, s0, v22, s6
	v_add_co_ci_u32_e64 v21, s0, s7, v23, s0
	global_store_dwordx2 v[8:9], v[2:3], off
	;; [unrolled: 3-line block ×3, first 2 shown]
	global_store_dwordx2 v[16:17], v[6:7], off
	global_store_dwordx2 v[22:23], v[18:19], off
	global_store_dwordx2 v[20:21], v[12:13], off
	global_store_dwordx2 v[0:1], v[14:15], off
	s_and_b32 exec_lo, exec_lo, vcc_lo
	s_cbranch_execz .LBB0_39
; %bb.38:
	global_load_dwordx2 v[2:3], v[152:153], off offset:1280
	ds_read_b64 v[4:5], v213 offset:5376
	ds_read_b64 v[6:7], v213 offset:10976
	v_add_co_u32 v0, vcc_lo, v0, s6
	v_add_co_ci_u32_e32 v1, vcc_lo, s7, v1, vcc_lo
	s_waitcnt vmcnt(0) lgkmcnt(1)
	v_mul_f32_e32 v8, v5, v3
	v_mul_f32_e32 v3, v4, v3
	v_fmac_f32_e32 v8, v4, v2
	v_fma_f32 v4, v2, v5, -v3
	v_cvt_f64_f32_e32 v[2:3], v8
	v_cvt_f64_f32_e32 v[4:5], v4
	v_mul_f64 v[2:3], v[2:3], s[2:3]
	v_mul_f64 v[4:5], v[4:5], s[2:3]
	v_cvt_f32_f64_e32 v2, v[2:3]
	v_cvt_f32_f64_e32 v3, v[4:5]
	global_store_dwordx2 v[0:1], v[2:3], off
	global_load_dwordx2 v[2:3], v[154:155], off offset:736
	v_add_co_u32 v0, vcc_lo, v0, s4
	v_add_co_ci_u32_e32 v1, vcc_lo, s5, v1, vcc_lo
	s_waitcnt vmcnt(0) lgkmcnt(0)
	v_mul_f32_e32 v4, v7, v3
	v_mul_f32_e32 v3, v6, v3
	v_fmac_f32_e32 v4, v6, v2
	v_fma_f32 v5, v2, v7, -v3
	v_cvt_f64_f32_e32 v[2:3], v4
	v_cvt_f64_f32_e32 v[4:5], v5
	v_mul_f64 v[2:3], v[2:3], s[2:3]
	v_mul_f64 v[4:5], v[4:5], s[2:3]
	v_cvt_f32_f64_e32 v2, v[2:3]
	v_cvt_f32_f64_e32 v3, v[4:5]
	global_store_dwordx2 v[0:1], v[2:3], off
.LBB0_39:
	s_endpgm
	.section	.rodata,"a",@progbits
	.p2align	6, 0x0
	.amdhsa_kernel bluestein_single_back_len1400_dim1_sp_op_CI_CI
		.amdhsa_group_segment_fixed_size 11200
		.amdhsa_private_segment_fixed_size 92
		.amdhsa_kernarg_size 104
		.amdhsa_user_sgpr_count 6
		.amdhsa_user_sgpr_private_segment_buffer 1
		.amdhsa_user_sgpr_dispatch_ptr 0
		.amdhsa_user_sgpr_queue_ptr 0
		.amdhsa_user_sgpr_kernarg_segment_ptr 1
		.amdhsa_user_sgpr_dispatch_id 0
		.amdhsa_user_sgpr_flat_scratch_init 0
		.amdhsa_user_sgpr_private_segment_size 0
		.amdhsa_wavefront_size32 1
		.amdhsa_uses_dynamic_stack 0
		.amdhsa_system_sgpr_private_segment_wavefront_offset 1
		.amdhsa_system_sgpr_workgroup_id_x 1
		.amdhsa_system_sgpr_workgroup_id_y 0
		.amdhsa_system_sgpr_workgroup_id_z 0
		.amdhsa_system_sgpr_workgroup_info 0
		.amdhsa_system_vgpr_workitem_id 0
		.amdhsa_next_free_vgpr 256
		.amdhsa_next_free_sgpr 20
		.amdhsa_reserve_vcc 1
		.amdhsa_reserve_flat_scratch 0
		.amdhsa_float_round_mode_32 0
		.amdhsa_float_round_mode_16_64 0
		.amdhsa_float_denorm_mode_32 3
		.amdhsa_float_denorm_mode_16_64 3
		.amdhsa_dx10_clamp 1
		.amdhsa_ieee_mode 1
		.amdhsa_fp16_overflow 0
		.amdhsa_workgroup_processor_mode 1
		.amdhsa_memory_ordered 1
		.amdhsa_forward_progress 0
		.amdhsa_shared_vgpr_count 0
		.amdhsa_exception_fp_ieee_invalid_op 0
		.amdhsa_exception_fp_denorm_src 0
		.amdhsa_exception_fp_ieee_div_zero 0
		.amdhsa_exception_fp_ieee_overflow 0
		.amdhsa_exception_fp_ieee_underflow 0
		.amdhsa_exception_fp_ieee_inexact 0
		.amdhsa_exception_int_div_zero 0
	.end_amdhsa_kernel
	.text
.Lfunc_end0:
	.size	bluestein_single_back_len1400_dim1_sp_op_CI_CI, .Lfunc_end0-bluestein_single_back_len1400_dim1_sp_op_CI_CI
                                        ; -- End function
	.section	.AMDGPU.csdata,"",@progbits
; Kernel info:
; codeLenInByte = 27620
; NumSgprs: 22
; NumVgprs: 256
; ScratchSize: 92
; MemoryBound: 0
; FloatMode: 240
; IeeeMode: 1
; LDSByteSize: 11200 bytes/workgroup (compile time only)
; SGPRBlocks: 2
; VGPRBlocks: 31
; NumSGPRsForWavesPerEU: 22
; NumVGPRsForWavesPerEU: 256
; Occupancy: 4
; WaveLimiterHint : 1
; COMPUTE_PGM_RSRC2:SCRATCH_EN: 1
; COMPUTE_PGM_RSRC2:USER_SGPR: 6
; COMPUTE_PGM_RSRC2:TRAP_HANDLER: 0
; COMPUTE_PGM_RSRC2:TGID_X_EN: 1
; COMPUTE_PGM_RSRC2:TGID_Y_EN: 0
; COMPUTE_PGM_RSRC2:TGID_Z_EN: 0
; COMPUTE_PGM_RSRC2:TIDIG_COMP_CNT: 0
	.text
	.p2alignl 6, 3214868480
	.fill 48, 4, 3214868480
	.type	__hip_cuid_af73d165bdbde791,@object ; @__hip_cuid_af73d165bdbde791
	.section	.bss,"aw",@nobits
	.globl	__hip_cuid_af73d165bdbde791
__hip_cuid_af73d165bdbde791:
	.byte	0                               ; 0x0
	.size	__hip_cuid_af73d165bdbde791, 1

	.ident	"AMD clang version 19.0.0git (https://github.com/RadeonOpenCompute/llvm-project roc-6.4.0 25133 c7fe45cf4b819c5991fe208aaa96edf142730f1d)"
	.section	".note.GNU-stack","",@progbits
	.addrsig
	.addrsig_sym __hip_cuid_af73d165bdbde791
	.amdgpu_metadata
---
amdhsa.kernels:
  - .args:
      - .actual_access:  read_only
        .address_space:  global
        .offset:         0
        .size:           8
        .value_kind:     global_buffer
      - .actual_access:  read_only
        .address_space:  global
        .offset:         8
        .size:           8
        .value_kind:     global_buffer
      - .actual_access:  read_only
        .address_space:  global
        .offset:         16
        .size:           8
        .value_kind:     global_buffer
      - .actual_access:  read_only
        .address_space:  global
        .offset:         24
        .size:           8
        .value_kind:     global_buffer
      - .actual_access:  read_only
        .address_space:  global
        .offset:         32
        .size:           8
        .value_kind:     global_buffer
      - .offset:         40
        .size:           8
        .value_kind:     by_value
      - .address_space:  global
        .offset:         48
        .size:           8
        .value_kind:     global_buffer
      - .address_space:  global
        .offset:         56
        .size:           8
        .value_kind:     global_buffer
      - .address_space:  global
        .offset:         64
        .size:           8
        .value_kind:     global_buffer
      - .address_space:  global
        .offset:         72
        .size:           8
        .value_kind:     global_buffer
      - .offset:         80
        .size:           4
        .value_kind:     by_value
      - .address_space:  global
        .offset:         88
        .size:           8
        .value_kind:     global_buffer
      - .address_space:  global
        .offset:         96
        .size:           8
        .value_kind:     global_buffer
    .group_segment_fixed_size: 11200
    .kernarg_segment_align: 8
    .kernarg_segment_size: 104
    .language:       OpenCL C
    .language_version:
      - 2
      - 0
    .max_flat_workgroup_size: 56
    .name:           bluestein_single_back_len1400_dim1_sp_op_CI_CI
    .private_segment_fixed_size: 92
    .sgpr_count:     22
    .sgpr_spill_count: 0
    .symbol:         bluestein_single_back_len1400_dim1_sp_op_CI_CI.kd
    .uniform_work_group_size: 1
    .uses_dynamic_stack: false
    .vgpr_count:     256
    .vgpr_spill_count: 22
    .wavefront_size: 32
    .workgroup_processor_mode: 1
amdhsa.target:   amdgcn-amd-amdhsa--gfx1030
amdhsa.version:
  - 1
  - 2
...

	.end_amdgpu_metadata
